;; amdgpu-corpus repo=ROCm/rocBLAS kind=compiled arch=gfx950 opt=O3
	.amdgcn_target "amdgcn-amd-amdhsa--gfx950"
	.amdhsa_code_object_version 6
	.section	.text._ZL19rocblas_tbsv_kernelILb1ELi512EPKfPfEv18rocblas_operation_bbiiT1_lllT2_lll,"axG",@progbits,_ZL19rocblas_tbsv_kernelILb1ELi512EPKfPfEv18rocblas_operation_bbiiT1_lllT2_lll,comdat
	.globl	_ZL19rocblas_tbsv_kernelILb1ELi512EPKfPfEv18rocblas_operation_bbiiT1_lllT2_lll ; -- Begin function _ZL19rocblas_tbsv_kernelILb1ELi512EPKfPfEv18rocblas_operation_bbiiT1_lllT2_lll
	.p2align	8
	.type	_ZL19rocblas_tbsv_kernelILb1ELi512EPKfPfEv18rocblas_operation_bbiiT1_lllT2_lll,@function
_ZL19rocblas_tbsv_kernelILb1ELi512EPKfPfEv18rocblas_operation_bbiiT1_lllT2_lll: ; @_ZL19rocblas_tbsv_kernelILb1ELi512EPKfPfEv18rocblas_operation_bbiiT1_lllT2_lll
; %bb.0:
	s_load_dwordx2 s[38:39], s[0:1], 0x0
	s_load_dwordx4 s[20:23], s[0:1], 0x4
	s_load_dwordx16 s[4:19], s[0:1], 0x10
	s_waitcnt lgkmcnt(0)
	s_bitcmp1_b32 s39, 0
	s_cselect_b64 s[0:1], -1, 0
	s_xor_b64 s[36:37], s[0:1], -1
	s_bitcmp1_b32 s20, 8
	s_mul_i32 s0, s11, s2
	s_mul_hi_u32 s1, s10, s2
	s_cselect_b64 s[24:25], -1, 0
	s_add_i32 s27, s1, s0
	s_mul_i32 s26, s10, s2
	s_lshl_b64 s[28:29], s[26:27], 2
	s_add_u32 s0, s4, s28
	s_addc_u32 s1, s5, s29
	s_lshl_b64 s[30:31], s[6:7], 2
	s_add_u32 s34, s0, s30
	s_addc_u32 s35, s1, s31
	s_mul_i32 s0, s19, s2
	s_mul_hi_u32 s1, s18, s2
	s_add_i32 s1, s1, s0
	s_mul_i32 s0, s18, s2
	s_lshl_b64 s[0:1], s[0:1], 2
	s_add_u32 s2, s12, s0
	s_addc_u32 s3, s13, s1
	s_lshl_b64 s[0:1], s[14:15], 2
	s_add_u32 s10, s2, s0
	s_addc_u32 s11, s3, s1
	s_cmp_gt_i32 s21, 0
	s_cselect_b64 s[12:13], -1, 0
	s_cmpk_lg_i32 s38, 0x6f
	s_mov_b64 s[0:1], -1
	s_cbranch_scc0 .LBB0_109
; %bb.1:
	s_and_b64 vcc, exec, s[36:37]
	s_cbranch_vccz .LBB0_55
; %bb.2:
	s_andn2_b64 vcc, exec, s[12:13]
	s_cbranch_vccnz .LBB0_54
; %bb.3:
	s_add_i32 s33, s21, 0xfffffe00
	s_add_u32 s2, s28, s30
	s_addc_u32 s3, s29, s31
	s_ashr_i32 s1, s21, 31
	s_mov_b32 s0, s21
	s_lshl_b64 s[0:1], s[0:1], 2
	s_add_u32 s0, s2, s0
	s_addc_u32 s1, s3, s1
	s_add_u32 s0, s4, s0
	s_addc_u32 s1, s5, s1
	v_mov_b32_e32 v1, 0x1800
	s_add_u32 s14, s0, 0xfffff800
	v_add_u32_e32 v2, s21, v0
	v_lshl_or_b32 v1, v0, 2, v1
	v_sub_u32_e32 v8, 0, v0
	v_add_u32_e32 v9, 0xfffffe01, v0
	s_addc_u32 s15, s1, -1
	v_add_u32_e32 v10, 0xfffffc00, v2
	s_lshl_b64 s[18:19], s[8:9], 2
	s_xor_b64 s[38:39], s[24:25], -1
	v_mov_b32_e32 v3, 0
	s_mov_b64 s[40:41], 0x800
	s_mov_b32 s20, s21
	s_branch .LBB0_5
.LBB0_4:                                ;   in Loop: Header=BB0_5 Depth=1
	s_or_b64 exec, exec, s[42:43]
	s_addk_i32 s20, 0xfe00
	s_add_u32 s14, s14, 0xfffff800
	s_addc_u32 s15, s15, -1
	v_add_u32_e32 v10, 0xfffffe00, v10
	s_andn2_b64 vcc, exec, s[2:3]
	s_mov_b32 s33, s23
	s_barrier
	s_cbranch_vccz .LBB0_54
.LBB0_5:                                ; =>This Loop Header: Depth=1
                                        ;     Child Loop BB0_10 Depth 2
                                        ;     Child Loop BB0_24 Depth 2
                                        ;       Child Loop BB0_27 Depth 3
	v_add_u32_e32 v11, s33, v0
	v_cmp_gt_i32_e32 vcc, 0, v11
	v_cmp_lt_i32_e64 s[0:1], -1, v11
	s_and_saveexec_b64 s[2:3], s[0:1]
	s_cbranch_execz .LBB0_7
; %bb.6:                                ;   in Loop: Header=BB0_5 Depth=1
	v_mad_u64_u32 v[4:5], s[42:43], s16, v11, 0
	v_mov_b32_e32 v2, v5
	v_mad_u64_u32 v[6:7], s[42:43], s17, v11, v[2:3]
	v_mov_b32_e32 v5, v6
	v_lshl_add_u64 v[4:5], v[4:5], 2, s[10:11]
	global_load_dword v2, v[4:5], off
	s_waitcnt vmcnt(0)
	ds_write_b32 v1, v2
.LBB0_7:                                ;   in Loop: Header=BB0_5 Depth=1
	s_or_b64 exec, exec, s[2:3]
	v_ashrrev_i32_e32 v2, 31, v11
	v_mul_lo_u32 v7, s9, v11
	v_mul_lo_u32 v2, s8, v2
	v_mad_u64_u32 v[4:5], s[2:3], s8, v11, 0
	v_add3_u32 v5, v5, v2, v7
	v_add_u32_e32 v6, s22, v11
	v_lshl_add_u64 v[4:5], v[4:5], 2, s[34:35]
	s_movk_i32 s23, 0x1ff
	s_mov_b32 s44, 0
	s_movk_i32 s45, 0x1ff8
	s_xor_b64 s[42:43], vcc, -1
	s_waitcnt lgkmcnt(0)
	s_barrier
	s_branch .LBB0_10
.LBB0_8:                                ;   in Loop: Header=BB0_10 Depth=2
	s_or_b64 exec, exec, s[2:3]
	s_add_i32 s23, s23, -2
	s_add_i32 s44, s44, -2
	;; [unrolled: 1-line block ×3, first 2 shown]
	s_cmp_eq_u32 s46, 0
	s_cselect_b64 s[2:3], -1, 0
.LBB0_9:                                ;   in Loop: Header=BB0_10 Depth=2
	s_and_b64 vcc, exec, s[2:3]
	s_cbranch_vccnz .LBB0_20
.LBB0_10:                               ;   Parent Loop BB0_5 Depth=1
                                        ; =>  This Inner Loop Header: Depth=2
	s_add_i32 s46, s20, s44
	s_add_i32 s47, s46, -1
	s_cmp_lt_i32 s47, 0
	s_mov_b64 s[2:3], -1
	s_cbranch_scc1 .LBB0_9
; %bb.11:                               ;   in Loop: Header=BB0_10 Depth=2
	v_cmp_eq_u32_e32 vcc, s44, v9
	s_and_b64 s[48:49], s[38:39], vcc
	s_and_saveexec_b64 s[2:3], s[48:49]
	s_cbranch_execz .LBB0_13
; %bb.12:                               ;   in Loop: Header=BB0_10 Depth=2
	s_mul_i32 s48, s9, s47
	s_mul_hi_u32 s49, s8, s47
	s_add_i32 s49, s49, s48
	s_mul_i32 s48, s8, s47
	s_lshl_b64 s[48:49], s[48:49], 2
	s_add_u32 s48, s34, s48
	s_addc_u32 s49, s35, s49
	global_load_dword v2, v3, s[48:49]
	ds_read_b32 v7, v1
	s_waitcnt vmcnt(0) lgkmcnt(0)
	v_div_scale_f32 v12, s[48:49], v2, v2, v7
	v_rcp_f32_e32 v13, v12
	v_div_scale_f32 v14, vcc, v7, v2, v7
	v_fma_f32 v15, -v12, v13, 1.0
	v_fmac_f32_e32 v13, v15, v13
	v_mul_f32_e32 v15, v14, v13
	v_fma_f32 v16, -v12, v15, v14
	v_fmac_f32_e32 v15, v16, v13
	v_fma_f32 v12, -v12, v15, v14
	v_div_fmas_f32 v12, v12, v13, v15
	v_div_fixup_f32 v2, v12, v2, v7
	ds_write_b32 v1, v2
.LBB0_13:                               ;   in Loop: Header=BB0_10 Depth=2
	s_or_b64 exec, exec, s[2:3]
	v_cmp_gt_u32_e32 vcc, s23, v0
	v_cmp_le_i32_e64 s[2:3], s47, v6
	s_and_b64 s[48:49], s[42:43], vcc
	s_and_b64 s[48:49], s[48:49], s[2:3]
	s_waitcnt lgkmcnt(0)
	s_barrier
	s_and_saveexec_b64 s[2:3], s[48:49]
	s_cbranch_execz .LBB0_15
; %bb.14:                               ;   in Loop: Header=BB0_10 Depth=2
	v_add_u32_e32 v2, s44, v8
	v_add_u32_e32 v2, 0x1ff, v2
	v_lshl_add_u64 v[12:13], v[2:3], 2, v[4:5]
	global_load_dword v2, v[12:13], off
	v_mov_b32_e32 v7, s45
	ds_read_b32 v7, v7 offset:4
	ds_read_b32 v12, v1
	s_waitcnt vmcnt(0) lgkmcnt(0)
	v_fma_f32 v2, -v2, v7, v12
	ds_write_b32 v1, v2
.LBB0_15:                               ;   in Loop: Header=BB0_10 Depth=2
	s_or_b64 exec, exec, s[2:3]
	s_add_i32 s47, s46, -2
	s_cmp_lt_i32 s47, 0
	s_mov_b64 s[2:3], -1
	s_cbranch_scc1 .LBB0_9
; %bb.16:                               ;   in Loop: Header=BB0_10 Depth=2
	s_add_i32 s46, s23, -1
	v_cmp_eq_u32_e32 vcc, s46, v0
	s_and_b64 s[48:49], s[38:39], vcc
	s_and_saveexec_b64 s[2:3], s[48:49]
	s_cbranch_execz .LBB0_18
; %bb.17:                               ;   in Loop: Header=BB0_10 Depth=2
	s_mul_i32 s48, s9, s47
	s_mul_hi_u32 s49, s8, s47
	s_add_i32 s49, s49, s48
	s_mul_i32 s48, s8, s47
	s_lshl_b64 s[48:49], s[48:49], 2
	s_add_u32 s48, s34, s48
	s_addc_u32 s49, s35, s49
	global_load_dword v2, v3, s[48:49]
	ds_read_b32 v7, v1
	s_waitcnt vmcnt(0) lgkmcnt(0)
	v_div_scale_f32 v12, s[48:49], v2, v2, v7
	v_rcp_f32_e32 v13, v12
	v_div_scale_f32 v14, vcc, v7, v2, v7
	v_fma_f32 v15, -v12, v13, 1.0
	v_fmac_f32_e32 v13, v15, v13
	v_mul_f32_e32 v15, v14, v13
	v_fma_f32 v16, -v12, v15, v14
	v_fmac_f32_e32 v15, v16, v13
	v_fma_f32 v12, -v12, v15, v14
	v_div_fmas_f32 v12, v12, v13, v15
	v_div_fixup_f32 v2, v12, v2, v7
	ds_write_b32 v1, v2
.LBB0_18:                               ;   in Loop: Header=BB0_10 Depth=2
	s_or_b64 exec, exec, s[2:3]
	v_cmp_gt_u32_e32 vcc, s46, v0
	v_cmp_le_i32_e64 s[2:3], s47, v6
	s_and_b64 s[48:49], s[42:43], vcc
	s_and_b64 s[48:49], s[48:49], s[2:3]
	s_waitcnt lgkmcnt(0)
	s_barrier
	s_and_saveexec_b64 s[2:3], s[48:49]
	s_cbranch_execz .LBB0_8
; %bb.19:                               ;   in Loop: Header=BB0_10 Depth=2
	v_add_u32_e32 v2, s44, v8
	v_add_u32_e32 v2, 0x1fe, v2
	v_lshl_add_u64 v[12:13], v[2:3], 2, v[4:5]
	global_load_dword v2, v[12:13], off
	v_mov_b32_e32 v7, s45
	ds_read_b32 v7, v7
	ds_read_b32 v12, v1
	s_waitcnt vmcnt(0) lgkmcnt(0)
	v_fma_f32 v2, -v2, v7, v12
	ds_write_b32 v1, v2
	s_branch .LBB0_8
.LBB0_20:                               ;   in Loop: Header=BB0_5 Depth=1
	s_add_i32 s23, s33, 0xfffffe00
	s_cmp_lt_i32 s33, 1
	s_cselect_b64 s[2:3], -1, 0
	s_and_b64 vcc, exec, s[2:3]
	s_waitcnt lgkmcnt(0)
	s_barrier
	s_cbranch_vccnz .LBB0_52
; %bb.21:                               ;   in Loop: Header=BB0_5 Depth=1
	v_mad_i64_i32 v[4:5], s[42:43], v10, -4, s[14:15]
	s_mov_b64 s[42:43], 0
	v_mov_b32_e32 v2, v10
	v_mov_b32_e32 v12, v0
	s_mov_b32 s33, s23
                                        ; implicit-def: $sgpr44_sgpr45
	s_branch .LBB0_24
.LBB0_22:                               ;   in Loop: Header=BB0_24 Depth=2
	v_mad_u64_u32 v[6:7], s[48:49], s16, v13, 0
	v_mov_b32_e32 v16, v7
	v_mad_u64_u32 v[16:17], s[48:49], s17, v13, v[16:17]
	v_mov_b32_e32 v7, v16
	v_lshl_add_u64 v[6:7], v[6:7], 2, s[10:11]
	global_load_dword v13, v[6:7], off
	s_add_i32 s50, s33, 0xfffffe00
	s_cmp_lt_i32 s33, 1
	s_cselect_b64 s[48:49], -1, 0
	s_andn2_b64 s[44:45], s[44:45], exec
	s_and_b64 s[48:49], s[48:49], exec
	v_lshl_add_u64 v[4:5], v[4:5], 0, s[40:41]
	v_add_u32_e32 v2, 0xfffffe00, v2
	s_or_b64 s[44:45], s[44:45], s[48:49]
	s_mov_b32 s33, s50
	s_waitcnt vmcnt(0)
	v_sub_f32_e32 v13, v13, v14
	global_store_dword v[6:7], v13, off
.LBB0_23:                               ;   in Loop: Header=BB0_24 Depth=2
	s_or_b64 exec, exec, s[46:47]
	s_and_b64 s[46:47], exec, s[44:45]
	s_or_b64 s[42:43], s[46:47], s[42:43]
	s_andn2_b64 exec, exec, s[42:43]
	s_cbranch_execz .LBB0_51
.LBB0_24:                               ;   Parent Loop BB0_5 Depth=1
                                        ; =>  This Loop Header: Depth=2
                                        ;       Child Loop BB0_27 Depth 3
	v_add_u32_e32 v13, s33, v0
	v_cmp_lt_i32_e32 vcc, -1, v13
	s_or_b64 s[44:45], s[44:45], exec
	s_and_saveexec_b64 s[46:47], vcc
	s_cbranch_execz .LBB0_23
; %bb.25:                               ;   in Loop: Header=BB0_24 Depth=2
	v_mad_u64_u32 v[6:7], s[48:49], s18, v2, v[4:5]
	v_mov_b32_e32 v14, v7
	v_mad_u64_u32 v[14:15], s[48:49], s19, v2, v[14:15]
	v_mov_b32_e32 v7, v14
	v_add_u32_e32 v15, s22, v13
	v_add_u32_e32 v16, 0xfffffdfd, v12
	;; [unrolled: 1-line block ×5, first 2 shown]
	v_mov_b32_e32 v14, 0
	s_mov_b32 s52, 0
	s_movk_i32 s53, 0x1800
	s_branch .LBB0_27
.LBB0_26:                               ;   in Loop: Header=BB0_27 Depth=3
	s_or_b64 exec, exec, s[48:49]
	s_add_i32 s52, s52, 4
	s_add_i32 s53, s53, 16
	s_cmpk_eq_i32 s52, 0x200
	v_lshl_add_u64 v[6:7], v[6:7], 0, 16
	s_cbranch_scc1 .LBB0_22
.LBB0_27:                               ;   Parent Loop BB0_5 Depth=1
                                        ;     Parent Loop BB0_24 Depth=2
                                        ; =>    This Inner Loop Header: Depth=3
	v_cmp_ne_u32_e32 vcc, s52, v12
	s_add_i32 s54, s20, s52
	s_or_b64 s[48:49], s[38:39], vcc
	s_and_saveexec_b64 s[50:51], s[48:49]
	s_xor_b64 s[48:49], exec, s[50:51]
	s_cbranch_execz .LBB0_31
; %bb.28:                               ;   in Loop: Header=BB0_27 Depth=3
	s_add_i32 s50, s54, 0xfffffe00
	v_cmp_le_i32_e32 vcc, s50, v15
	s_and_saveexec_b64 s[50:51], vcc
	s_cbranch_execz .LBB0_30
; %bb.29:                               ;   in Loop: Header=BB0_27 Depth=3
	global_load_dword v19, v[6:7], off
	v_mov_b32_e32 v20, s53
	ds_read_b32 v20, v20
	s_waitcnt vmcnt(0) lgkmcnt(0)
	v_fmac_f32_e32 v14, v19, v20
.LBB0_30:                               ;   in Loop: Header=BB0_27 Depth=3
	s_or_b64 exec, exec, s[50:51]
.LBB0_31:                               ;   in Loop: Header=BB0_27 Depth=3
	s_andn2_saveexec_b64 s[48:49], s[48:49]
	s_cbranch_execz .LBB0_33
; %bb.32:                               ;   in Loop: Header=BB0_27 Depth=3
	v_mov_b32_e32 v19, s53
	ds_read_b32 v19, v19
	s_waitcnt lgkmcnt(0)
	v_add_f32_e32 v14, v14, v19
.LBB0_33:                               ;   in Loop: Header=BB0_27 Depth=3
	s_or_b64 exec, exec, s[48:49]
	v_cmp_ne_u32_e32 vcc, s52, v18
	s_or_b64 s[48:49], s[38:39], vcc
	s_and_saveexec_b64 s[50:51], s[48:49]
	s_xor_b64 s[48:49], exec, s[50:51]
	s_cbranch_execz .LBB0_37
; %bb.34:                               ;   in Loop: Header=BB0_27 Depth=3
	s_add_i32 s50, s54, 0xfffffe01
	v_cmp_le_i32_e32 vcc, s50, v15
	s_and_saveexec_b64 s[50:51], vcc
	s_cbranch_execz .LBB0_36
; %bb.35:                               ;   in Loop: Header=BB0_27 Depth=3
	global_load_dword v19, v[6:7], off offset:4
	v_mov_b32_e32 v20, s53
	ds_read_b32 v20, v20 offset:4
	s_waitcnt vmcnt(0) lgkmcnt(0)
	v_fmac_f32_e32 v14, v19, v20
.LBB0_36:                               ;   in Loop: Header=BB0_27 Depth=3
	s_or_b64 exec, exec, s[50:51]
.LBB0_37:                               ;   in Loop: Header=BB0_27 Depth=3
	s_andn2_saveexec_b64 s[48:49], s[48:49]
	s_cbranch_execz .LBB0_39
; %bb.38:                               ;   in Loop: Header=BB0_27 Depth=3
	v_mov_b32_e32 v19, s53
	ds_read_b32 v19, v19 offset:4
	s_waitcnt lgkmcnt(0)
	v_add_f32_e32 v14, v14, v19
.LBB0_39:                               ;   in Loop: Header=BB0_27 Depth=3
	s_or_b64 exec, exec, s[48:49]
	v_cmp_ne_u32_e32 vcc, s52, v17
	s_or_b64 s[48:49], s[38:39], vcc
	s_and_saveexec_b64 s[50:51], s[48:49]
	s_xor_b64 s[48:49], exec, s[50:51]
	s_cbranch_execz .LBB0_43
; %bb.40:                               ;   in Loop: Header=BB0_27 Depth=3
	s_add_i32 s50, s54, 0xfffffe02
	v_cmp_le_i32_e32 vcc, s50, v15
	s_and_saveexec_b64 s[50:51], vcc
	s_cbranch_execz .LBB0_42
; %bb.41:                               ;   in Loop: Header=BB0_27 Depth=3
	global_load_dword v19, v[6:7], off offset:8
	v_mov_b32_e32 v20, s53
	ds_read_b32 v20, v20 offset:8
	s_waitcnt vmcnt(0) lgkmcnt(0)
	v_fmac_f32_e32 v14, v19, v20
.LBB0_42:                               ;   in Loop: Header=BB0_27 Depth=3
	s_or_b64 exec, exec, s[50:51]
.LBB0_43:                               ;   in Loop: Header=BB0_27 Depth=3
	s_andn2_saveexec_b64 s[48:49], s[48:49]
	s_cbranch_execz .LBB0_45
; %bb.44:                               ;   in Loop: Header=BB0_27 Depth=3
	v_mov_b32_e32 v19, s53
	ds_read_b32 v19, v19 offset:8
	s_waitcnt lgkmcnt(0)
	v_add_f32_e32 v14, v14, v19
.LBB0_45:                               ;   in Loop: Header=BB0_27 Depth=3
	s_or_b64 exec, exec, s[48:49]
	v_cmp_ne_u32_e32 vcc, s52, v16
	s_or_b64 s[48:49], s[38:39], vcc
	s_and_saveexec_b64 s[50:51], s[48:49]
	s_xor_b64 s[48:49], exec, s[50:51]
	s_cbranch_execz .LBB0_49
; %bb.46:                               ;   in Loop: Header=BB0_27 Depth=3
	s_addk_i32 s54, 0xfe03
	v_cmp_le_i32_e32 vcc, s54, v15
	s_and_saveexec_b64 s[50:51], vcc
	s_cbranch_execz .LBB0_48
; %bb.47:                               ;   in Loop: Header=BB0_27 Depth=3
	global_load_dword v19, v[6:7], off offset:12
	v_mov_b32_e32 v20, s53
	ds_read_b32 v20, v20 offset:12
	s_waitcnt vmcnt(0) lgkmcnt(0)
	v_fmac_f32_e32 v14, v19, v20
.LBB0_48:                               ;   in Loop: Header=BB0_27 Depth=3
	s_or_b64 exec, exec, s[50:51]
.LBB0_49:                               ;   in Loop: Header=BB0_27 Depth=3
	s_andn2_saveexec_b64 s[48:49], s[48:49]
	s_cbranch_execz .LBB0_26
; %bb.50:                               ;   in Loop: Header=BB0_27 Depth=3
	v_mov_b32_e32 v19, s53
	ds_read_b32 v19, v19 offset:12
	s_waitcnt lgkmcnt(0)
	v_add_f32_e32 v14, v14, v19
	s_branch .LBB0_26
.LBB0_51:                               ;   in Loop: Header=BB0_5 Depth=1
	s_or_b64 exec, exec, s[42:43]
.LBB0_52:                               ;   in Loop: Header=BB0_5 Depth=1
	s_and_saveexec_b64 s[42:43], s[0:1]
	s_cbranch_execz .LBB0_4
; %bb.53:                               ;   in Loop: Header=BB0_5 Depth=1
	ds_read_b32 v12, v1
	v_mad_u64_u32 v[4:5], s[0:1], s16, v11, 0
	v_mov_b32_e32 v2, v5
	v_mad_u64_u32 v[6:7], s[0:1], s17, v11, v[2:3]
	v_mov_b32_e32 v5, v6
	v_lshl_add_u64 v[4:5], v[4:5], 2, s[10:11]
	s_waitcnt lgkmcnt(0)
	global_store_dword v[4:5], v12, off
	s_branch .LBB0_4
.LBB0_54:
	s_mov_b64 s[0:1], 0
.LBB0_55:
	s_andn2_b64 vcc, exec, s[0:1]
	s_cbranch_vccnz .LBB0_108
; %bb.56:
	s_andn2_b64 vcc, exec, s[12:13]
	s_cbranch_vccnz .LBB0_108
; %bb.57:
	s_ashr_i32 s23, s22, 31
	s_lshl_b64 s[0:1], s[8:9], 2
	s_lshl_b64 s[2:3], s[22:23], 2
	s_add_u32 s20, s28, s2
	s_addc_u32 s23, s29, s3
	s_add_u32 s14, s20, s0
	s_addc_u32 s15, s23, s1
	;; [unrolled: 2-line block ×3, first 2 shown]
	s_lshl_b64 s[18:19], s[8:9], 11
	s_lshl_b64 s[38:39], s[8:9], 3
	s_add_u32 s40, s18, 0x800
	s_addc_u32 s41, s19, 0
	s_add_u32 s33, s0, -4
	s_addc_u32 s42, s1, -1
	s_add_u32 s2, s4, s2
	s_addc_u32 s3, s5, s3
	s_add_u32 s0, s2, s28
	s_addc_u32 s1, s3, s29
	v_mov_b64_e32 v[2:3], s[0:1]
	v_mad_u64_u32 v[2:3], s[0:1], s33, v0, v[2:3]
	v_mov_b32_e32 v4, v3
	v_mad_u64_u32 v[4:5], s[0:1], s42, v0, v[4:5]
	v_or_b32_e32 v10, 0x200, v0
	v_mov_b32_e32 v3, v4
	v_mad_u64_u32 v[4:5], s[0:1], s8, v10, 0
	s_add_u32 s42, s4, s20
	v_mov_b32_e32 v6, v5
	s_addc_u32 s43, s5, s23
	v_mad_u64_u32 v[6:7], s[0:1], s9, v10, v[6:7]
	s_add_u32 s0, s2, s30
	s_addc_u32 s1, s3, s31
	s_add_u32 s0, s0, s28
	s_addc_u32 s1, s1, s29
	v_mov_b32_e32 v1, 0x800
	v_mov_b32_e32 v5, v6
	s_add_u32 s44, s18, 0xfffff800
	v_lshl_or_b32 v1, v0, 2, v1
	v_lshl_add_u64 v[4:5], v[4:5], 2, s[0:1]
	s_addc_u32 s45, s19, -1
	s_mov_b32 s20, 0
	v_mov_b32_e32 v11, 0
	s_xor_b64 s[46:47], s[24:25], -1
	s_branch .LBB0_59
.LBB0_58:                               ;   in Loop: Header=BB0_59 Depth=1
	s_or_b64 exec, exec, s[48:49]
	s_add_u32 s14, s14, s18
	s_addc_u32 s15, s15, s19
	s_add_u32 s42, s42, s18
	v_lshl_add_u64 v[2:3], v[2:3], 0, s[18:19]
	s_addc_u32 s43, s43, s19
	v_lshl_add_u64 v[4:5], v[4:5], 0, s[40:41]
	v_add_u32_e32 v10, 0x200, v10
	s_and_b64 vcc, exec, s[2:3]
	s_mov_b32 s20, s23
	s_barrier
	s_cbranch_vccnz .LBB0_108
.LBB0_59:                               ; =>This Loop Header: Depth=1
                                        ;     Child Loop BB0_63 Depth 2
                                        ;     Child Loop BB0_78 Depth 2
                                        ;       Child Loop BB0_81 Depth 3
	v_add_u32_e32 v12, s20, v0
	v_cmp_le_i32_e32 vcc, s21, v12
	v_cmp_gt_i32_e64 s[0:1], s21, v12
	s_and_saveexec_b64 s[2:3], s[0:1]
	s_cbranch_execz .LBB0_61
; %bb.60:                               ;   in Loop: Header=BB0_59 Depth=1
	v_mad_u64_u32 v[6:7], s[48:49], s16, v12, 0
	v_mov_b32_e32 v8, v7
	v_mad_u64_u32 v[8:9], s[48:49], s17, v12, v[8:9]
	v_mov_b32_e32 v7, v8
	v_lshl_add_u64 v[6:7], v[6:7], 2, s[10:11]
	global_load_dword v6, v[6:7], off
	s_waitcnt vmcnt(0)
	ds_write_b32 v1, v6
.LBB0_61:                               ;   in Loop: Header=BB0_59 Depth=1
	s_or_b64 exec, exec, s[2:3]
	v_subrev_u32_e32 v8, s22, v12
	s_mov_b32 s33, 0
	s_movk_i32 s23, 0x800
	s_xor_b64 s[48:49], vcc, -1
	s_mov_b64 s[52:53], s[42:43]
	v_mov_b64_e32 v[6:7], v[2:3]
	s_mov_b64 s[50:51], s[14:15]
	s_waitcnt lgkmcnt(0)
	s_barrier
	s_branch .LBB0_63
.LBB0_62:                               ;   in Loop: Header=BB0_63 Depth=2
                                        ; implicit-def: $sgpr33
                                        ; implicit-def: $sgpr23
                                        ; implicit-def: $sgpr50_sgpr51
                                        ; implicit-def: $vgpr6_vgpr7
                                        ; implicit-def: $sgpr52_sgpr53
	s_cbranch_execnz .LBB0_74
.LBB0_63:                               ;   Parent Loop BB0_59 Depth=1
                                        ; =>  This Inner Loop Header: Depth=2
	s_add_i32 s54, s20, s33
	s_cmp_ge_i32 s54, s21
	s_cbranch_scc1 .LBB0_62
; %bb.64:                               ;   in Loop: Header=BB0_63 Depth=2
	v_cmp_eq_u32_e32 vcc, s33, v0
	s_and_b64 s[56:57], s[46:47], vcc
	s_and_saveexec_b64 s[2:3], s[56:57]
	s_cbranch_execz .LBB0_66
; %bb.65:                               ;   in Loop: Header=BB0_63 Depth=2
	s_add_u32 s56, s52, s30
	s_addc_u32 s57, s53, s31
	global_load_dword v9, v11, s[56:57]
	ds_read_b32 v13, v1
	s_waitcnt vmcnt(0) lgkmcnt(0)
	v_div_scale_f32 v14, s[56:57], v9, v9, v13
	v_rcp_f32_e32 v15, v14
	v_div_scale_f32 v16, vcc, v13, v9, v13
	v_fma_f32 v17, -v14, v15, 1.0
	v_fmac_f32_e32 v15, v17, v15
	v_mul_f32_e32 v17, v16, v15
	v_fma_f32 v18, -v14, v17, v16
	v_fmac_f32_e32 v17, v18, v15
	v_fma_f32 v14, -v14, v17, v16
	v_div_fmas_f32 v14, v14, v15, v17
	v_div_fixup_f32 v9, v14, v9, v13
	ds_write_b32 v1, v9
.LBB0_66:                               ;   in Loop: Header=BB0_63 Depth=2
	s_or_b64 exec, exec, s[2:3]
	v_cmp_lt_u32_e32 vcc, s33, v0
	v_cmp_ge_i32_e64 s[2:3], s54, v8
	s_and_b64 s[56:57], s[48:49], vcc
	s_and_b64 s[56:57], s[56:57], s[2:3]
	s_waitcnt lgkmcnt(0)
	s_barrier
	s_and_saveexec_b64 s[2:3], s[56:57]
	s_cbranch_execz .LBB0_68
; %bb.67:                               ;   in Loop: Header=BB0_63 Depth=2
	v_lshl_add_u64 v[14:15], v[6:7], 0, s[30:31]
	global_load_dword v9, v[14:15], off
	v_mov_b32_e32 v13, s23
	ds_read_b32 v13, v13
	ds_read_b32 v14, v1
	s_waitcnt vmcnt(0) lgkmcnt(0)
	v_fma_f32 v9, -v9, v13, v14
	ds_write_b32 v1, v9
.LBB0_68:                               ;   in Loop: Header=BB0_63 Depth=2
	s_or_b64 exec, exec, s[2:3]
	s_add_i32 s54, s54, 1
	s_cmp_ge_i32 s54, s21
	s_cbranch_scc1 .LBB0_62
; %bb.69:                               ;   in Loop: Header=BB0_63 Depth=2
	s_add_i32 s33, s33, 1
	v_cmp_eq_u32_e32 vcc, s33, v0
	s_and_b64 s[56:57], s[46:47], vcc
	s_and_saveexec_b64 s[2:3], s[56:57]
	s_cbranch_execz .LBB0_71
; %bb.70:                               ;   in Loop: Header=BB0_63 Depth=2
	s_add_u32 s56, s50, s30
	s_addc_u32 s57, s51, s31
	global_load_dword v9, v11, s[56:57]
	ds_read_b32 v13, v1
	s_waitcnt vmcnt(0) lgkmcnt(0)
	v_div_scale_f32 v14, s[56:57], v9, v9, v13
	v_rcp_f32_e32 v15, v14
	v_div_scale_f32 v16, vcc, v13, v9, v13
	v_fma_f32 v17, -v14, v15, 1.0
	v_fmac_f32_e32 v15, v17, v15
	v_mul_f32_e32 v17, v16, v15
	v_fma_f32 v18, -v14, v17, v16
	v_fmac_f32_e32 v17, v18, v15
	v_fma_f32 v14, -v14, v17, v16
	v_div_fmas_f32 v14, v14, v15, v17
	v_div_fixup_f32 v9, v14, v9, v13
	ds_write_b32 v1, v9
.LBB0_71:                               ;   in Loop: Header=BB0_63 Depth=2
	s_or_b64 exec, exec, s[2:3]
	v_cmp_lt_u32_e32 vcc, s33, v0
	v_cmp_ge_i32_e64 s[2:3], s54, v8
	s_and_b64 s[54:55], s[48:49], vcc
	s_and_b64 s[54:55], s[54:55], s[2:3]
	s_waitcnt lgkmcnt(0)
	s_barrier
	s_and_saveexec_b64 s[2:3], s[54:55]
	s_cbranch_execz .LBB0_73
; %bb.72:                               ;   in Loop: Header=BB0_63 Depth=2
	v_lshl_add_u64 v[14:15], v[6:7], 0, s[30:31]
	global_load_dword v9, v[14:15], off offset:4
	v_mov_b32_e32 v13, s23
	ds_read_b32 v13, v13 offset:4
	ds_read_b32 v14, v1
	s_waitcnt vmcnt(0) lgkmcnt(0)
	v_fma_f32 v9, -v9, v13, v14
	ds_write_b32 v1, v9
.LBB0_73:                               ;   in Loop: Header=BB0_63 Depth=2
	s_or_b64 exec, exec, s[2:3]
	s_add_i32 s23, s23, 8
	s_add_u32 s50, s50, s38
	s_addc_u32 s51, s51, s39
	s_add_u32 s52, s52, s38
	s_addc_u32 s53, s53, s39
	s_add_i32 s33, s33, 1
	s_cmpk_eq_i32 s33, 0x200
	v_lshl_add_u64 v[6:7], v[6:7], 0, 8
	s_cselect_b64 s[2:3], -1, 0
	s_and_b64 vcc, exec, s[2:3]
	s_cbranch_vccz .LBB0_63
.LBB0_74:                               ;   in Loop: Header=BB0_59 Depth=1
	s_add_i32 s23, s20, 0x200
	s_cmp_ge_i32 s23, s21
	s_cselect_b64 s[2:3], -1, 0
	s_and_b64 vcc, exec, s[2:3]
	s_waitcnt lgkmcnt(0)
	s_barrier
	s_cbranch_vccnz .LBB0_106
; %bb.75:                               ;   in Loop: Header=BB0_59 Depth=1
	v_mad_i64_i32 v[6:7], s[48:49], v10, -4, v[4:5]
	s_mov_b64 s[48:49], 0
	v_mov_b32_e32 v13, v0
	s_mov_b32 s33, s23
                                        ; implicit-def: $sgpr50_sgpr51
	s_branch .LBB0_78
.LBB0_76:                               ;   in Loop: Header=BB0_78 Depth=2
	v_mad_u64_u32 v[8:9], s[54:55], s16, v14, 0
	v_mov_b32_e32 v16, v9
	v_mad_u64_u32 v[16:17], s[54:55], s17, v14, v[16:17]
	v_mov_b32_e32 v9, v16
	v_lshl_add_u64 v[8:9], v[8:9], 2, s[10:11]
	global_load_dword v14, v[8:9], off
	s_addk_i32 s33, 0x200
	s_cmp_ge_i32 s33, s21
	s_cselect_b64 s[54:55], -1, 0
	s_andn2_b64 s[50:51], s[50:51], exec
	s_and_b64 s[54:55], s[54:55], exec
	v_lshl_add_u64 v[6:7], v[6:7], 0, s[44:45]
	s_or_b64 s[50:51], s[50:51], s[54:55]
	s_waitcnt vmcnt(0)
	v_sub_f32_e32 v14, v14, v15
	global_store_dword v[8:9], v14, off
.LBB0_77:                               ;   in Loop: Header=BB0_78 Depth=2
	s_or_b64 exec, exec, s[52:53]
	s_and_b64 s[52:53], exec, s[50:51]
	s_or_b64 s[48:49], s[52:53], s[48:49]
	s_andn2_b64 exec, exec, s[48:49]
	s_cbranch_execz .LBB0_105
.LBB0_78:                               ;   Parent Loop BB0_59 Depth=1
                                        ; =>  This Loop Header: Depth=2
                                        ;       Child Loop BB0_81 Depth 3
	v_add_u32_e32 v14, s33, v0
	v_cmp_gt_i32_e32 vcc, s21, v14
	s_or_b64 s[50:51], s[50:51], exec
	s_and_saveexec_b64 s[52:53], vcc
	s_cbranch_execz .LBB0_77
; %bb.79:                               ;   in Loop: Header=BB0_78 Depth=2
	v_subrev_u32_e32 v16, s22, v14
	v_add_u32_e32 v17, 0x1fd, v13
	v_add_u32_e32 v18, 0x1fe, v13
	;; [unrolled: 1-line block ×4, first 2 shown]
	v_mov_b32_e32 v15, 0
	s_mov_b32 s58, 0
	s_movk_i32 s59, 0x800
	v_mov_b64_e32 v[8:9], v[6:7]
	s_branch .LBB0_81
.LBB0_80:                               ;   in Loop: Header=BB0_81 Depth=3
	s_or_b64 exec, exec, s[54:55]
	s_add_i32 s58, s58, 4
	s_add_i32 s59, s59, 16
	s_cmpk_eq_i32 s58, 0x200
	v_lshl_add_u64 v[8:9], v[8:9], 0, 16
	s_cbranch_scc1 .LBB0_76
.LBB0_81:                               ;   Parent Loop BB0_59 Depth=1
                                        ;     Parent Loop BB0_78 Depth=2
                                        ; =>    This Inner Loop Header: Depth=3
	v_cmp_ne_u32_e32 vcc, s58, v13
	s_add_i32 s60, s20, s58
	s_or_b64 s[54:55], s[46:47], vcc
	s_and_saveexec_b64 s[56:57], s[54:55]
	s_xor_b64 s[54:55], exec, s[56:57]
	s_cbranch_execz .LBB0_85
; %bb.82:                               ;   in Loop: Header=BB0_81 Depth=3
	s_cmp_lt_i32 s60, s21
	s_cselect_b64 s[56:57], -1, 0
	v_cmp_ge_i32_e32 vcc, s60, v16
	s_and_b64 s[62:63], s[56:57], vcc
	s_and_saveexec_b64 s[56:57], s[62:63]
	s_cbranch_execz .LBB0_84
; %bb.83:                               ;   in Loop: Header=BB0_81 Depth=3
	global_load_dword v20, v[8:9], off
	v_mov_b32_e32 v21, s59
	ds_read_b32 v21, v21
	s_waitcnt vmcnt(0) lgkmcnt(0)
	v_fmac_f32_e32 v15, v20, v21
.LBB0_84:                               ;   in Loop: Header=BB0_81 Depth=3
	s_or_b64 exec, exec, s[56:57]
.LBB0_85:                               ;   in Loop: Header=BB0_81 Depth=3
	s_andn2_saveexec_b64 s[54:55], s[54:55]
	s_cbranch_execz .LBB0_87
; %bb.86:                               ;   in Loop: Header=BB0_81 Depth=3
	v_mov_b32_e32 v20, s59
	ds_read_b32 v20, v20
	s_waitcnt lgkmcnt(0)
	v_add_f32_e32 v15, v15, v20
.LBB0_87:                               ;   in Loop: Header=BB0_81 Depth=3
	s_or_b64 exec, exec, s[54:55]
	v_cmp_ne_u32_e32 vcc, s58, v19
	s_or_b64 s[54:55], s[46:47], vcc
	s_and_saveexec_b64 s[56:57], s[54:55]
	s_xor_b64 s[54:55], exec, s[56:57]
	s_cbranch_execz .LBB0_91
; %bb.88:                               ;   in Loop: Header=BB0_81 Depth=3
	s_add_i32 s61, s60, 1
	s_cmp_lt_i32 s61, s21
	s_cselect_b64 s[56:57], -1, 0
	v_cmp_ge_i32_e32 vcc, s61, v16
	s_and_b64 s[62:63], s[56:57], vcc
	s_and_saveexec_b64 s[56:57], s[62:63]
	s_cbranch_execz .LBB0_90
; %bb.89:                               ;   in Loop: Header=BB0_81 Depth=3
	global_load_dword v20, v[8:9], off offset:4
	v_mov_b32_e32 v21, s59
	ds_read_b32 v21, v21 offset:4
	s_waitcnt vmcnt(0) lgkmcnt(0)
	v_fmac_f32_e32 v15, v20, v21
.LBB0_90:                               ;   in Loop: Header=BB0_81 Depth=3
	s_or_b64 exec, exec, s[56:57]
.LBB0_91:                               ;   in Loop: Header=BB0_81 Depth=3
	s_andn2_saveexec_b64 s[54:55], s[54:55]
	s_cbranch_execz .LBB0_93
; %bb.92:                               ;   in Loop: Header=BB0_81 Depth=3
	v_mov_b32_e32 v20, s59
	ds_read_b32 v20, v20 offset:4
	s_waitcnt lgkmcnt(0)
	v_add_f32_e32 v15, v15, v20
.LBB0_93:                               ;   in Loop: Header=BB0_81 Depth=3
	s_or_b64 exec, exec, s[54:55]
	v_cmp_ne_u32_e32 vcc, s58, v18
	s_or_b64 s[54:55], s[46:47], vcc
	s_and_saveexec_b64 s[56:57], s[54:55]
	s_xor_b64 s[54:55], exec, s[56:57]
	s_cbranch_execz .LBB0_97
; %bb.94:                               ;   in Loop: Header=BB0_81 Depth=3
	s_add_i32 s61, s60, 2
	s_cmp_lt_i32 s61, s21
	s_cselect_b64 s[56:57], -1, 0
	v_cmp_ge_i32_e32 vcc, s61, v16
	s_and_b64 s[62:63], s[56:57], vcc
	s_and_saveexec_b64 s[56:57], s[62:63]
	s_cbranch_execz .LBB0_96
; %bb.95:                               ;   in Loop: Header=BB0_81 Depth=3
	global_load_dword v20, v[8:9], off offset:8
	v_mov_b32_e32 v21, s59
	ds_read_b32 v21, v21 offset:8
	s_waitcnt vmcnt(0) lgkmcnt(0)
	v_fmac_f32_e32 v15, v20, v21
.LBB0_96:                               ;   in Loop: Header=BB0_81 Depth=3
	s_or_b64 exec, exec, s[56:57]
.LBB0_97:                               ;   in Loop: Header=BB0_81 Depth=3
	s_andn2_saveexec_b64 s[54:55], s[54:55]
	s_cbranch_execz .LBB0_99
; %bb.98:                               ;   in Loop: Header=BB0_81 Depth=3
	v_mov_b32_e32 v20, s59
	ds_read_b32 v20, v20 offset:8
	s_waitcnt lgkmcnt(0)
	v_add_f32_e32 v15, v15, v20
.LBB0_99:                               ;   in Loop: Header=BB0_81 Depth=3
	s_or_b64 exec, exec, s[54:55]
	v_cmp_ne_u32_e32 vcc, s58, v17
	s_or_b64 s[54:55], s[46:47], vcc
	s_and_saveexec_b64 s[56:57], s[54:55]
	s_xor_b64 s[54:55], exec, s[56:57]
	s_cbranch_execz .LBB0_103
; %bb.100:                              ;   in Loop: Header=BB0_81 Depth=3
	s_add_i32 s60, s60, 3
	s_cmp_lt_i32 s60, s21
	s_cselect_b64 s[56:57], -1, 0
	v_cmp_ge_i32_e32 vcc, s60, v16
	s_and_b64 s[60:61], s[56:57], vcc
	s_and_saveexec_b64 s[56:57], s[60:61]
	s_cbranch_execz .LBB0_102
; %bb.101:                              ;   in Loop: Header=BB0_81 Depth=3
	global_load_dword v20, v[8:9], off offset:12
	v_mov_b32_e32 v21, s59
	ds_read_b32 v21, v21 offset:12
	s_waitcnt vmcnt(0) lgkmcnt(0)
	v_fmac_f32_e32 v15, v20, v21
.LBB0_102:                              ;   in Loop: Header=BB0_81 Depth=3
	s_or_b64 exec, exec, s[56:57]
.LBB0_103:                              ;   in Loop: Header=BB0_81 Depth=3
	s_andn2_saveexec_b64 s[54:55], s[54:55]
	s_cbranch_execz .LBB0_80
; %bb.104:                              ;   in Loop: Header=BB0_81 Depth=3
	v_mov_b32_e32 v20, s59
	ds_read_b32 v20, v20 offset:12
	s_waitcnt lgkmcnt(0)
	v_add_f32_e32 v15, v15, v20
	s_branch .LBB0_80
.LBB0_105:                              ;   in Loop: Header=BB0_59 Depth=1
	s_or_b64 exec, exec, s[48:49]
.LBB0_106:                              ;   in Loop: Header=BB0_59 Depth=1
	s_and_saveexec_b64 s[48:49], s[0:1]
	s_cbranch_execz .LBB0_58
; %bb.107:                              ;   in Loop: Header=BB0_59 Depth=1
	ds_read_b32 v13, v1
	v_mad_u64_u32 v[6:7], s[0:1], s16, v12, 0
	v_mov_b32_e32 v8, v7
	v_mad_u64_u32 v[8:9], s[0:1], s17, v12, v[8:9]
	v_mov_b32_e32 v7, v8
	v_lshl_add_u64 v[6:7], v[6:7], 2, s[10:11]
	s_waitcnt lgkmcnt(0)
	global_store_dword v[6:7], v13, off
	s_branch .LBB0_58
.LBB0_108:
	s_mov_b64 s[0:1], 0
.LBB0_109:
	s_andn2_b64 vcc, exec, s[0:1]
	s_cbranch_vccnz .LBB0_183
; %bb.110:
	s_mov_b64 s[0:1], -1
	s_and_b64 vcc, exec, s[36:37]
	s_cbranch_vccz .LBB0_147
; %bb.111:
	s_andn2_b64 vcc, exec, s[12:13]
	s_cbranch_vccnz .LBB0_146
; %bb.112:
	s_lshl_b64 s[14:15], s[8:9], 11
	s_lshl_b64 s[18:19], s[8:9], 2
	s_add_u32 s0, s28, s18
	s_addc_u32 s1, s29, s19
	s_add_u32 s0, s0, s30
	s_addc_u32 s1, s1, s31
	;; [unrolled: 2-line block ×3, first 2 shown]
	s_add_u32 s36, s0, -4
	s_addc_u32 s37, s1, -1
	s_lshl_b64 s[0:1], s[8:9], 3
	s_add_u32 s20, s0, -8
	v_lshlrev_b32_e32 v1, 2, v0
	v_or_b32_e32 v2, 0x200, v0
	s_addc_u32 s23, s1, -1
	s_mov_b32 s33, 0
	s_mov_b64 s[38:39], 0
	s_xor_b64 s[40:41], s[24:25], -1
	v_mov_b32_e32 v5, 0
	s_branch .LBB0_114
.LBB0_113:                              ;   in Loop: Header=BB0_114 Depth=1
	s_or_b64 exec, exec, s[42:43]
	s_add_u32 s34, s34, s14
	s_addc_u32 s35, s35, s15
	s_add_u32 s38, s38, 0xfffffe00
	s_addc_u32 s39, s39, -1
	s_add_u32 s36, s36, s14
	v_add_u32_e32 v2, 0x200, v2
	s_addc_u32 s37, s37, s15
	s_and_b64 vcc, exec, s[2:3]
	s_mov_b32 s33, s60
	s_barrier
	s_cbranch_vccnz .LBB0_146
.LBB0_114:                              ; =>This Loop Header: Depth=1
                                        ;     Child Loop BB0_118 Depth 2
                                        ;     Child Loop BB0_128 Depth 2
                                        ;       Child Loop BB0_131 Depth 3
	v_add_u32_e32 v8, s33, v0
	v_cmp_le_i32_e32 vcc, s21, v8
	v_cmp_gt_i32_e64 s[0:1], s21, v8
	s_and_saveexec_b64 s[2:3], s[0:1]
	s_cbranch_execz .LBB0_116
; %bb.115:                              ;   in Loop: Header=BB0_114 Depth=1
	v_mad_u64_u32 v[6:7], s[42:43], s16, v8, 0
	v_mov_b32_e32 v4, v7
	v_mad_u64_u32 v[10:11], s[42:43], s17, v8, v[4:5]
	v_mov_b32_e32 v7, v10
	v_lshl_add_u64 v[6:7], v[6:7], 2, s[10:11]
	global_load_dword v3, v[6:7], off
	s_waitcnt vmcnt(0)
	ds_write_b32 v1, v3
.LBB0_116:                              ;   in Loop: Header=BB0_114 Depth=1
	s_or_b64 exec, exec, s[2:3]
	v_subrev_u32_e32 v3, s22, v8
	s_mov_b32 s46, 0
	s_xor_b64 s[42:43], vcc, -1
	s_mov_b64 s[44:45], s[34:35]
	v_mov_b32_e32 v4, v0
	s_mov_b32 s47, 0
	s_waitcnt lgkmcnt(0)
	s_barrier
	s_branch .LBB0_118
.LBB0_117:                              ;   in Loop: Header=BB0_118 Depth=2
	s_or_b64 exec, exec, s[2:3]
	s_add_i32 s47, s47, 1
	s_add_i32 s46, s46, 4
	s_add_u32 s44, s44, s18
	s_addc_u32 s45, s45, s19
	s_cmpk_eq_i32 s47, 0x200
	v_add_u32_e32 v4, -1, v4
	s_cselect_b64 s[2:3], -1, 0
	s_and_b64 vcc, exec, s[2:3]
	s_cbranch_vccnz .LBB0_124
.LBB0_118:                              ;   Parent Loop BB0_114 Depth=1
                                        ; =>  This Inner Loop Header: Depth=2
	s_add_i32 s48, s33, s47
	s_cmp_ge_i32 s48, s21
	s_cbranch_scc1 .LBB0_123
; %bb.119:                              ;   in Loop: Header=BB0_118 Depth=2
	v_cmp_eq_u32_e32 vcc, s47, v0
	s_and_b64 s[50:51], s[40:41], vcc
	s_and_saveexec_b64 s[2:3], s[50:51]
	s_cbranch_execz .LBB0_121
; %bb.120:                              ;   in Loop: Header=BB0_118 Depth=2
	global_load_dword v6, v5, s[44:45]
	ds_read_b32 v7, v1
	s_waitcnt vmcnt(0) lgkmcnt(0)
	v_div_scale_f32 v9, s[50:51], v6, v6, v7
	v_rcp_f32_e32 v10, v9
	v_div_scale_f32 v11, vcc, v7, v6, v7
	v_fma_f32 v12, -v9, v10, 1.0
	v_fmac_f32_e32 v10, v12, v10
	v_mul_f32_e32 v12, v11, v10
	v_fma_f32 v13, -v9, v12, v11
	v_fmac_f32_e32 v12, v13, v10
	v_fma_f32 v9, -v9, v12, v11
	v_div_fmas_f32 v9, v9, v10, v12
	v_div_fixup_f32 v6, v9, v6, v7
	ds_write_b32 v1, v6
.LBB0_121:                              ;   in Loop: Header=BB0_118 Depth=2
	s_or_b64 exec, exec, s[2:3]
	v_cmp_lt_u32_e32 vcc, s47, v0
	v_cmp_ge_i32_e64 s[2:3], s48, v3
	s_and_b64 s[48:49], s[42:43], vcc
	s_and_b64 s[48:49], s[48:49], s[2:3]
	s_waitcnt lgkmcnt(0)
	s_barrier
	s_and_saveexec_b64 s[2:3], s[48:49]
	s_cbranch_execz .LBB0_117
; %bb.122:                              ;   in Loop: Header=BB0_118 Depth=2
	v_lshl_add_u64 v[6:7], v[4:5], 2, s[44:45]
	global_load_dword v6, v[6:7], off
	v_mov_b32_e32 v7, s46
	ds_read_b32 v7, v7
	ds_read_b32 v9, v1
	s_waitcnt vmcnt(0) lgkmcnt(0)
	v_fma_f32 v6, -v6, v7, v9
	ds_write_b32 v1, v6
	s_branch .LBB0_117
.LBB0_123:                              ;   in Loop: Header=BB0_118 Depth=2
                                        ; implicit-def: $sgpr47
                                        ; implicit-def: $sgpr46
                                        ; implicit-def: $sgpr44_sgpr45
	s_cbranch_execz .LBB0_118
.LBB0_124:                              ;   in Loop: Header=BB0_114 Depth=1
	s_add_i32 s60, s33, 0x200
	s_cmp_ge_i32 s60, s21
	s_cselect_b64 s[2:3], -1, 0
	s_and_b64 vcc, exec, s[2:3]
	s_waitcnt lgkmcnt(0)
	s_barrier
	s_cbranch_vccnz .LBB0_144
; %bb.125:                              ;   in Loop: Header=BB0_114 Depth=1
	v_ashrrev_i32_e32 v3, 31, v2
	v_lshl_add_u64 v[6:7], s[38:39], 0, v[2:3]
	v_lshlrev_b64 v[6:7], 2, v[6:7]
	s_mov_b64 s[42:43], 0
	s_mov_b64 s[44:45], s[34:35]
	s_mov_b64 s[46:47], s[36:37]
	v_mov_b32_e32 v3, v0
	s_mov_b32 s61, s60
                                        ; implicit-def: $sgpr48_sgpr49
	s_branch .LBB0_128
.LBB0_126:                              ;   in Loop: Header=BB0_128 Depth=2
	v_mad_u64_u32 v[10:11], s[52:53], s16, v9, 0
	v_mov_b32_e32 v12, v11
	v_mad_u64_u32 v[12:13], s[52:53], s17, v9, v[12:13]
	v_mov_b32_e32 v11, v12
	v_lshl_add_u64 v[10:11], v[10:11], 2, s[10:11]
	global_load_dword v9, v[10:11], off
	s_addk_i32 s61, 0x200
	s_add_u32 s46, s46, 0x800
	s_addc_u32 s47, s47, 0
	s_add_u32 s44, s44, 0x800
	s_addc_u32 s45, s45, 0
	s_cmp_ge_i32 s61, s21
	s_cselect_b64 s[52:53], -1, 0
	s_andn2_b64 s[48:49], s[48:49], exec
	s_and_b64 s[52:53], s[52:53], exec
	s_or_b64 s[48:49], s[48:49], s[52:53]
	s_waitcnt vmcnt(0)
	v_sub_f32_e32 v4, v9, v4
	global_store_dword v[10:11], v4, off
.LBB0_127:                              ;   in Loop: Header=BB0_128 Depth=2
	s_or_b64 exec, exec, s[50:51]
	s_and_b64 s[50:51], exec, s[48:49]
	s_or_b64 s[42:43], s[50:51], s[42:43]
	s_andn2_b64 exec, exec, s[42:43]
	s_cbranch_execz .LBB0_143
.LBB0_128:                              ;   Parent Loop BB0_114 Depth=1
                                        ; =>  This Loop Header: Depth=2
                                        ;       Child Loop BB0_131 Depth 3
	v_add_u32_e32 v9, s61, v0
	v_cmp_gt_i32_e32 vcc, s21, v9
	s_or_b64 s[48:49], s[48:49], exec
	s_and_saveexec_b64 s[50:51], vcc
	s_cbranch_execz .LBB0_127
; %bb.129:                              ;   in Loop: Header=BB0_128 Depth=2
	v_subrev_u32_e32 v10, s22, v9
	v_add_u32_e32 v11, 0x1ff, v3
	v_add_u32_e32 v3, 0x200, v3
	v_mov_b32_e32 v4, 0
	s_mov_b32 s62, 0
	s_mov_b64 s[52:53], s[44:45]
	s_mov_b64 s[54:55], s[46:47]
	s_mov_b32 s63, 0
	s_branch .LBB0_131
.LBB0_130:                              ;   in Loop: Header=BB0_131 Depth=3
	s_or_b64 exec, exec, s[56:57]
	s_add_i32 s63, s63, 2
	s_add_u32 s54, s54, s20
	s_addc_u32 s55, s55, s23
	s_add_i32 s62, s62, 8
	s_add_u32 s52, s52, s20
	s_addc_u32 s53, s53, s23
	s_cmpk_eq_i32 s63, 0x200
	s_cbranch_scc1 .LBB0_126
.LBB0_131:                              ;   Parent Loop BB0_114 Depth=1
                                        ;     Parent Loop BB0_128 Depth=2
                                        ; =>    This Inner Loop Header: Depth=3
	v_cmp_ne_u32_e32 vcc, s63, v3
	s_add_i32 s64, s33, s63
	s_or_b64 s[56:57], s[40:41], vcc
	s_and_saveexec_b64 s[58:59], s[56:57]
	s_xor_b64 s[56:57], exec, s[58:59]
	s_cbranch_execz .LBB0_135
; %bb.132:                              ;   in Loop: Header=BB0_131 Depth=3
	s_cmp_lt_i32 s64, s21
	s_cselect_b64 s[58:59], -1, 0
	v_cmp_ge_i32_e32 vcc, s64, v10
	s_and_b64 s[66:67], s[58:59], vcc
	s_and_saveexec_b64 s[58:59], s[66:67]
	s_cbranch_execz .LBB0_134
; %bb.133:                              ;   in Loop: Header=BB0_131 Depth=3
	v_lshl_add_u64 v[12:13], s[52:53], 0, v[6:7]
	global_load_dword v12, v[12:13], off
	v_mov_b32_e32 v13, s62
	ds_read_b32 v13, v13
	s_waitcnt vmcnt(0) lgkmcnt(0)
	v_fmac_f32_e32 v4, v12, v13
.LBB0_134:                              ;   in Loop: Header=BB0_131 Depth=3
	s_or_b64 exec, exec, s[58:59]
.LBB0_135:                              ;   in Loop: Header=BB0_131 Depth=3
	s_andn2_saveexec_b64 s[56:57], s[56:57]
	s_cbranch_execz .LBB0_137
; %bb.136:                              ;   in Loop: Header=BB0_131 Depth=3
	v_mov_b32_e32 v12, s62
	ds_read_b32 v12, v12
	s_waitcnt lgkmcnt(0)
	v_add_f32_e32 v4, v4, v12
.LBB0_137:                              ;   in Loop: Header=BB0_131 Depth=3
	s_or_b64 exec, exec, s[56:57]
	v_cmp_ne_u32_e32 vcc, s63, v11
	s_or_b64 s[56:57], s[40:41], vcc
	s_and_saveexec_b64 s[58:59], s[56:57]
	s_xor_b64 s[56:57], exec, s[58:59]
	s_cbranch_execz .LBB0_141
; %bb.138:                              ;   in Loop: Header=BB0_131 Depth=3
	s_add_i32 s64, s64, 1
	s_cmp_lt_i32 s64, s21
	s_cselect_b64 s[58:59], -1, 0
	v_cmp_ge_i32_e32 vcc, s64, v10
	s_and_b64 s[64:65], s[58:59], vcc
	s_and_saveexec_b64 s[58:59], s[64:65]
	s_cbranch_execz .LBB0_140
; %bb.139:                              ;   in Loop: Header=BB0_131 Depth=3
	v_lshl_add_u64 v[12:13], s[54:55], 0, v[6:7]
	global_load_dword v12, v[12:13], off
	v_mov_b32_e32 v13, s62
	ds_read_b32 v13, v13 offset:4
	s_waitcnt vmcnt(0) lgkmcnt(0)
	v_fmac_f32_e32 v4, v12, v13
.LBB0_140:                              ;   in Loop: Header=BB0_131 Depth=3
	s_or_b64 exec, exec, s[58:59]
.LBB0_141:                              ;   in Loop: Header=BB0_131 Depth=3
	s_andn2_saveexec_b64 s[56:57], s[56:57]
	s_cbranch_execz .LBB0_130
; %bb.142:                              ;   in Loop: Header=BB0_131 Depth=3
	v_mov_b32_e32 v12, s62
	ds_read_b32 v12, v12 offset:4
	s_waitcnt lgkmcnt(0)
	v_add_f32_e32 v4, v4, v12
	s_branch .LBB0_130
.LBB0_143:                              ;   in Loop: Header=BB0_114 Depth=1
	s_or_b64 exec, exec, s[42:43]
.LBB0_144:                              ;   in Loop: Header=BB0_114 Depth=1
	s_and_saveexec_b64 s[42:43], s[0:1]
	s_cbranch_execz .LBB0_113
; %bb.145:                              ;   in Loop: Header=BB0_114 Depth=1
	ds_read_b32 v3, v1
	v_mad_u64_u32 v[6:7], s[0:1], s16, v8, 0
	v_mov_b32_e32 v4, v7
	v_mad_u64_u32 v[8:9], s[0:1], s17, v8, v[4:5]
	v_mov_b32_e32 v7, v8
	v_lshl_add_u64 v[6:7], v[6:7], 2, s[10:11]
	s_waitcnt lgkmcnt(0)
	global_store_dword v[6:7], v3, off
	s_branch .LBB0_113
.LBB0_146:
	s_mov_b64 s[0:1], 0
.LBB0_147:
	s_andn2_b64 vcc, exec, s[0:1]
	s_cbranch_vccnz .LBB0_183
; %bb.148:
	s_andn2_b64 vcc, exec, s[12:13]
	s_cbranch_vccnz .LBB0_183
; %bb.149:
	s_add_i32 s34, s21, 0xfffffe00
	s_add_i32 s12, s21, -1
	s_add_u32 s2, s28, s30
	s_addc_u32 s3, s29, s31
	s_ashr_i32 s23, s22, 31
	s_lshl_b64 s[0:1], s[22:23], 2
	s_add_u32 s2, s2, s0
	s_addc_u32 s3, s3, s1
	s_ashr_i32 s13, s12, 31
	s_lshl_b64 s[0:1], s[12:13], 2
	s_sub_u32 s0, s2, s0
	s_subb_u32 s1, s3, s1
	s_add_u32 s14, s4, s0
	s_addc_u32 s15, s5, s1
	s_lshl_b64 s[18:19], s[8:9], 2
	s_add_u32 s13, s18, 4
	s_addc_u32 s20, s19, 0
	s_add_u32 s0, s6, s26
	s_addc_u32 s1, s7, s27
	s_add_u32 s0, s0, s22
	s_addc_u32 s1, s1, s23
	s_ashr_i32 s3, s21, 31
	s_mov_b32 s2, s21
	s_lshl_b64 s[0:1], s[0:1], 2
	s_lshl_b64 s[2:3], s[2:3], 2
	s_sub_u32 s0, s0, s2
	s_subb_u32 s1, s1, s3
	s_add_u32 s0, s4, s0
	s_addc_u32 s1, s5, s1
	s_add_u32 s4, s0, 0x7fc
	s_addc_u32 s5, s1, 0
	s_add_i32 s23, s21, 0xfffffe01
	s_add_u32 s33, s0, 0x800
	s_addc_u32 s40, s1, 0
	s_lshl_b64 s[0:1], s[8:9], 3
	v_mov_b32_e32 v1, 0x1000
	v_add_u32_e32 v3, s21, v0
	s_add_u32 s41, s0, -8
	v_lshl_or_b32 v1, v0, 2, v1
	v_add_u32_e32 v2, 0xfffffe00, v3
	v_add_u32_e32 v10, 0xfffffc00, v3
	s_addc_u32 s42, s1, -1
	v_mov_b32_e32 v5, 0
	s_xor_b64 s[6:7], s[24:25], -1
	s_branch .LBB0_151
.LBB0_150:                              ;   in Loop: Header=BB0_151 Depth=1
	s_or_b64 exec, exec, s[8:9]
	s_addk_i32 s12, 0xfe00
	s_add_u32 s14, s14, 0x800
	s_addc_u32 s15, s15, 0
	s_addk_i32 s21, 0xfe00
	s_add_u32 s4, s4, 0x800
	s_addc_u32 s5, s5, 0
	s_addk_i32 s23, 0xfe00
	s_add_u32 s33, s33, 0x800
	v_add_u32_e32 v2, 0xfffffe00, v2
	v_add_u32_e32 v10, 0xfffffe00, v10
	s_addc_u32 s40, s40, 0
	s_and_b64 vcc, exec, s[2:3]
	s_mov_b32 s34, s43
	s_barrier
	s_cbranch_vccnz .LBB0_183
.LBB0_151:                              ; =>This Loop Header: Depth=1
                                        ;     Child Loop BB0_156 Depth 2
                                        ;     Child Loop BB0_165 Depth 2
                                        ;       Child Loop BB0_168 Depth 3
	v_add_u32_e32 v11, s34, v0
	v_cmp_gt_i32_e32 vcc, 0, v11
	v_cmp_lt_i32_e64 s[0:1], -1, v11
	s_and_saveexec_b64 s[2:3], s[0:1]
	s_cbranch_execz .LBB0_153
; %bb.152:                              ;   in Loop: Header=BB0_151 Depth=1
	v_mad_u64_u32 v[6:7], s[8:9], s16, v11, 0
	v_mov_b32_e32 v4, v7
	v_mad_u64_u32 v[8:9], s[8:9], s17, v11, v[4:5]
	v_mov_b32_e32 v7, v8
	v_lshl_add_u64 v[6:7], v[6:7], 2, s[10:11]
	global_load_dword v3, v[6:7], off
	s_waitcnt vmcnt(0)
	ds_write_b32 v1, v3
.LBB0_153:                              ;   in Loop: Header=BB0_151 Depth=1
	s_or_b64 exec, exec, s[2:3]
	v_mov_b32_e32 v3, v5
	v_mov_b64_e32 v[6:7], s[14:15]
	v_lshl_add_u64 v[8:9], v[2:3], 2, s[14:15]
	v_add_u32_e32 v3, s22, v11
	s_movk_i32 s24, 0x1ff
	s_movk_i32 s25, 0x17fc
	s_xor_b64 s[8:9], vcc, -1
	s_mov_b32 s26, s12
	s_waitcnt lgkmcnt(0)
	s_barrier
	s_branch .LBB0_156
.LBB0_154:                              ;   in Loop: Header=BB0_156 Depth=2
	s_or_b64 exec, exec, s[2:3]
	s_add_i32 s24, s24, -1
	s_add_i32 s25, s25, -4
	;; [unrolled: 1-line block ×3, first 2 shown]
	s_cmp_eq_u32 s24, -1
	v_lshl_add_u64 v[8:9], v[8:9], 0, 4
	v_lshl_add_u64 v[6:7], v[6:7], 0, 4
	s_cselect_b64 s[2:3], -1, 0
.LBB0_155:                              ;   in Loop: Header=BB0_156 Depth=2
	s_and_b64 vcc, exec, s[2:3]
	s_cbranch_vccnz .LBB0_161
.LBB0_156:                              ;   Parent Loop BB0_151 Depth=1
                                        ; =>  This Inner Loop Header: Depth=2
	s_add_i32 s27, s12, s24
	s_addk_i32 s27, 0xfe01
	s_cmp_lt_i32 s27, 0
	s_mov_b64 s[2:3], -1
	s_cbranch_scc1 .LBB0_155
; %bb.157:                              ;   in Loop: Header=BB0_156 Depth=2
	v_cmp_eq_u32_e32 vcc, s24, v0
	s_and_b64 s[28:29], s[6:7], vcc
	s_and_saveexec_b64 s[2:3], s[28:29]
	s_cbranch_execz .LBB0_159
; %bb.158:                              ;   in Loop: Header=BB0_156 Depth=2
	s_mul_i32 s28, s20, s26
	s_mul_hi_u32 s29, s13, s26
	s_add_i32 s29, s29, s28
	s_mul_i32 s28, s13, s26
	v_lshl_add_u64 v[12:13], v[6:7], 0, s[28:29]
	global_load_dword v4, v[12:13], off
	ds_read_b32 v12, v1
	s_waitcnt vmcnt(0) lgkmcnt(0)
	v_div_scale_f32 v13, s[28:29], v4, v4, v12
	v_rcp_f32_e32 v14, v13
	v_div_scale_f32 v15, vcc, v12, v4, v12
	v_fma_f32 v16, -v13, v14, 1.0
	v_fmac_f32_e32 v14, v16, v14
	v_mul_f32_e32 v16, v15, v14
	v_fma_f32 v17, -v13, v16, v15
	v_fmac_f32_e32 v16, v17, v14
	v_fma_f32 v13, -v13, v16, v15
	v_div_fmas_f32 v13, v13, v14, v16
	v_div_fixup_f32 v4, v13, v4, v12
	ds_write_b32 v1, v4
.LBB0_159:                              ;   in Loop: Header=BB0_156 Depth=2
	s_or_b64 exec, exec, s[2:3]
	v_cmp_gt_u32_e32 vcc, s24, v0
	v_cmp_le_i32_e64 s[2:3], s27, v3
	s_and_b64 s[28:29], s[8:9], vcc
	s_and_b64 s[28:29], s[28:29], s[2:3]
	s_waitcnt lgkmcnt(0)
	s_barrier
	s_and_saveexec_b64 s[2:3], s[28:29]
	s_cbranch_execz .LBB0_154
; %bb.160:                              ;   in Loop: Header=BB0_156 Depth=2
	v_mov_b32_e32 v4, s26
	v_mad_u64_u32 v[12:13], s[28:29], s18, v4, v[8:9]
	s_mul_i32 s27, s19, s26
	v_add_u32_e32 v13, s27, v13
	global_load_dword v4, v[12:13], off
	v_mov_b32_e32 v12, s25
	ds_read_b32 v12, v12
	ds_read_b32 v13, v1
	s_waitcnt vmcnt(0) lgkmcnt(0)
	v_fma_f32 v4, -v4, v12, v13
	ds_write_b32 v1, v4
	s_branch .LBB0_154
.LBB0_161:                              ;   in Loop: Header=BB0_151 Depth=1
	s_add_i32 s43, s34, 0xfffffe00
	s_cmp_lt_i32 s34, 1
	s_cselect_b64 s[2:3], -1, 0
	s_and_b64 vcc, exec, s[2:3]
	s_waitcnt lgkmcnt(0)
	s_barrier
	s_cbranch_vccnz .LBB0_181
; %bb.162:                              ;   in Loop: Header=BB0_151 Depth=1
	s_mul_i32 s8, s19, s34
	s_mul_hi_u32 s9, s18, s34
	s_add_i32 s9, s9, s8
	s_mul_i32 s8, s18, s34
	s_add_u32 s8, s33, s8
	s_addc_u32 s9, s40, s9
	s_mov_b64 s[24:25], 0
	v_mov_b32_e32 v4, v10
	v_mov_b32_e32 v3, v0
	s_mov_b32 s44, s43
                                        ; implicit-def: $sgpr26_sgpr27
	s_branch .LBB0_165
.LBB0_163:                              ;   in Loop: Header=BB0_165 Depth=2
	v_mad_u64_u32 v[6:7], s[30:31], s16, v8, 0
	v_mov_b32_e32 v12, v7
	v_mad_u64_u32 v[12:13], s[30:31], s17, v8, v[12:13]
	v_mov_b32_e32 v7, v12
	v_lshl_add_u64 v[6:7], v[6:7], 2, s[10:11]
	global_load_dword v8, v[6:7], off
	s_add_i32 s34, s44, 0xfffffe00
	s_cmp_lt_i32 s44, 1
	s_cselect_b64 s[30:31], -1, 0
	s_andn2_b64 s[26:27], s[26:27], exec
	s_and_b64 s[30:31], s[30:31], exec
	v_add_u32_e32 v4, 0xfffffe00, v4
	s_or_b64 s[26:27], s[26:27], s[30:31]
	s_mov_b32 s44, s34
	s_waitcnt vmcnt(0)
	v_sub_f32_e32 v8, v8, v9
	global_store_dword v[6:7], v8, off
.LBB0_164:                              ;   in Loop: Header=BB0_165 Depth=2
	s_or_b64 exec, exec, s[28:29]
	s_and_b64 s[28:29], exec, s[26:27]
	s_or_b64 s[24:25], s[28:29], s[24:25]
	s_andn2_b64 exec, exec, s[24:25]
	s_cbranch_execz .LBB0_180
.LBB0_165:                              ;   Parent Loop BB0_151 Depth=1
                                        ; =>  This Loop Header: Depth=2
                                        ;       Child Loop BB0_168 Depth 3
	v_add_u32_e32 v8, s44, v0
	v_cmp_lt_i32_e32 vcc, -1, v8
	s_or_b64 s[26:27], s[26:27], exec
	s_and_saveexec_b64 s[28:29], vcc
	s_cbranch_execz .LBB0_164
; %bb.166:                              ;   in Loop: Header=BB0_165 Depth=2
	v_lshlrev_b64 v[6:7], 2, v[4:5]
	v_add_u32_e32 v12, s22, v8
	v_add_u32_e32 v13, 0xfffffdff, v3
	;; [unrolled: 1-line block ×3, first 2 shown]
	v_mov_b32_e32 v9, 0
	s_mov_b32 s45, 0
	s_movk_i32 s46, 0x1000
	s_mov_b64 s[30:31], s[8:9]
	s_mov_b32 s47, s23
	s_mov_b64 s[34:35], s[4:5]
	s_branch .LBB0_168
.LBB0_167:                              ;   in Loop: Header=BB0_168 Depth=3
	s_or_b64 exec, exec, s[36:37]
	s_add_i32 s45, s45, 2
	s_add_i32 s46, s46, 8
	s_add_u32 s34, s34, -8
	s_addc_u32 s35, s35, -1
	s_add_i32 s47, s47, 2
	s_add_u32 s30, s30, s41
	s_addc_u32 s31, s31, s42
	s_cmpk_eq_i32 s45, 0x200
	s_cbranch_scc1 .LBB0_163
.LBB0_168:                              ;   Parent Loop BB0_151 Depth=1
                                        ;     Parent Loop BB0_165 Depth=2
                                        ; =>    This Inner Loop Header: Depth=3
	v_cmp_ne_u32_e32 vcc, s45, v3
	s_add_i32 s48, s21, s45
	s_or_b64 s[36:37], s[6:7], vcc
	s_and_saveexec_b64 s[38:39], s[36:37]
	s_xor_b64 s[36:37], exec, s[38:39]
	s_cbranch_execz .LBB0_172
; %bb.169:                              ;   in Loop: Header=BB0_168 Depth=3
	s_add_i32 s38, s48, 0xfffffe00
	v_cmp_le_i32_e32 vcc, s38, v12
	s_and_saveexec_b64 s[38:39], vcc
	s_cbranch_execz .LBB0_171
; %bb.170:                              ;   in Loop: Header=BB0_168 Depth=3
	v_lshl_add_u64 v[14:15], s[30:31], 0, v[6:7]
	global_load_dword v14, v[14:15], off
	v_mov_b32_e32 v15, s46
	ds_read_b32 v15, v15
	s_waitcnt vmcnt(0) lgkmcnt(0)
	v_fmac_f32_e32 v9, v14, v15
.LBB0_171:                              ;   in Loop: Header=BB0_168 Depth=3
	s_or_b64 exec, exec, s[38:39]
.LBB0_172:                              ;   in Loop: Header=BB0_168 Depth=3
	s_andn2_saveexec_b64 s[36:37], s[36:37]
	s_cbranch_execz .LBB0_174
; %bb.173:                              ;   in Loop: Header=BB0_168 Depth=3
	v_mov_b32_e32 v14, s46
	ds_read_b32 v14, v14
	s_waitcnt lgkmcnt(0)
	v_add_f32_e32 v9, v9, v14
.LBB0_174:                              ;   in Loop: Header=BB0_168 Depth=3
	s_or_b64 exec, exec, s[36:37]
	v_cmp_ne_u32_e32 vcc, s45, v13
	s_or_b64 s[36:37], s[6:7], vcc
	s_and_saveexec_b64 s[38:39], s[36:37]
	s_xor_b64 s[36:37], exec, s[38:39]
	s_cbranch_execz .LBB0_178
; %bb.175:                              ;   in Loop: Header=BB0_168 Depth=3
	s_addk_i32 s48, 0xfe01
	v_cmp_le_i32_e32 vcc, s48, v12
	s_and_saveexec_b64 s[38:39], vcc
	s_cbranch_execz .LBB0_177
; %bb.176:                              ;   in Loop: Header=BB0_168 Depth=3
	s_mul_i32 s48, s19, s47
	s_mul_hi_u32 s49, s18, s47
	s_add_i32 s49, s49, s48
	s_mul_i32 s48, s18, s47
	s_add_u32 s48, s34, s48
	s_addc_u32 s49, s35, s49
	v_lshl_add_u64 v[14:15], s[48:49], 0, v[6:7]
	global_load_dword v14, v[14:15], off
	v_mov_b32_e32 v15, s46
	ds_read_b32 v15, v15 offset:4
	s_waitcnt vmcnt(0) lgkmcnt(0)
	v_fmac_f32_e32 v9, v14, v15
.LBB0_177:                              ;   in Loop: Header=BB0_168 Depth=3
	s_or_b64 exec, exec, s[38:39]
.LBB0_178:                              ;   in Loop: Header=BB0_168 Depth=3
	s_andn2_saveexec_b64 s[36:37], s[36:37]
	s_cbranch_execz .LBB0_167
; %bb.179:                              ;   in Loop: Header=BB0_168 Depth=3
	v_mov_b32_e32 v14, s46
	ds_read_b32 v14, v14 offset:4
	s_waitcnt lgkmcnt(0)
	v_add_f32_e32 v9, v9, v14
	s_branch .LBB0_167
.LBB0_180:                              ;   in Loop: Header=BB0_151 Depth=1
	s_or_b64 exec, exec, s[24:25]
.LBB0_181:                              ;   in Loop: Header=BB0_151 Depth=1
	s_and_saveexec_b64 s[8:9], s[0:1]
	s_cbranch_execz .LBB0_150
; %bb.182:                              ;   in Loop: Header=BB0_151 Depth=1
	ds_read_b32 v3, v1
	v_mad_u64_u32 v[6:7], s[0:1], s16, v11, 0
	v_mov_b32_e32 v4, v7
	v_mad_u64_u32 v[8:9], s[0:1], s17, v11, v[4:5]
	v_mov_b32_e32 v7, v8
	v_lshl_add_u64 v[6:7], v[6:7], 2, s[10:11]
	s_waitcnt lgkmcnt(0)
	global_store_dword v[6:7], v3, off
	s_branch .LBB0_150
.LBB0_183:
	s_endpgm
	.section	.rodata,"a",@progbits
	.p2align	6, 0x0
	.amdhsa_kernel _ZL19rocblas_tbsv_kernelILb1ELi512EPKfPfEv18rocblas_operation_bbiiT1_lllT2_lll
		.amdhsa_group_segment_fixed_size 8192
		.amdhsa_private_segment_fixed_size 0
		.amdhsa_kernarg_size 80
		.amdhsa_user_sgpr_count 2
		.amdhsa_user_sgpr_dispatch_ptr 0
		.amdhsa_user_sgpr_queue_ptr 0
		.amdhsa_user_sgpr_kernarg_segment_ptr 1
		.amdhsa_user_sgpr_dispatch_id 0
		.amdhsa_user_sgpr_kernarg_preload_length 0
		.amdhsa_user_sgpr_kernarg_preload_offset 0
		.amdhsa_user_sgpr_private_segment_size 0
		.amdhsa_uses_dynamic_stack 0
		.amdhsa_enable_private_segment 0
		.amdhsa_system_sgpr_workgroup_id_x 1
		.amdhsa_system_sgpr_workgroup_id_y 0
		.amdhsa_system_sgpr_workgroup_id_z 0
		.amdhsa_system_sgpr_workgroup_info 0
		.amdhsa_system_vgpr_workitem_id 0
		.amdhsa_next_free_vgpr 22
		.amdhsa_next_free_sgpr 68
		.amdhsa_accum_offset 24
		.amdhsa_reserve_vcc 1
		.amdhsa_float_round_mode_32 0
		.amdhsa_float_round_mode_16_64 0
		.amdhsa_float_denorm_mode_32 3
		.amdhsa_float_denorm_mode_16_64 3
		.amdhsa_dx10_clamp 1
		.amdhsa_ieee_mode 1
		.amdhsa_fp16_overflow 0
		.amdhsa_tg_split 0
		.amdhsa_exception_fp_ieee_invalid_op 0
		.amdhsa_exception_fp_denorm_src 0
		.amdhsa_exception_fp_ieee_div_zero 0
		.amdhsa_exception_fp_ieee_overflow 0
		.amdhsa_exception_fp_ieee_underflow 0
		.amdhsa_exception_fp_ieee_inexact 0
		.amdhsa_exception_int_div_zero 0
	.end_amdhsa_kernel
	.section	.text._ZL19rocblas_tbsv_kernelILb1ELi512EPKfPfEv18rocblas_operation_bbiiT1_lllT2_lll,"axG",@progbits,_ZL19rocblas_tbsv_kernelILb1ELi512EPKfPfEv18rocblas_operation_bbiiT1_lllT2_lll,comdat
.Lfunc_end0:
	.size	_ZL19rocblas_tbsv_kernelILb1ELi512EPKfPfEv18rocblas_operation_bbiiT1_lllT2_lll, .Lfunc_end0-_ZL19rocblas_tbsv_kernelILb1ELi512EPKfPfEv18rocblas_operation_bbiiT1_lllT2_lll
                                        ; -- End function
	.set _ZL19rocblas_tbsv_kernelILb1ELi512EPKfPfEv18rocblas_operation_bbiiT1_lllT2_lll.num_vgpr, 22
	.set _ZL19rocblas_tbsv_kernelILb1ELi512EPKfPfEv18rocblas_operation_bbiiT1_lllT2_lll.num_agpr, 0
	.set _ZL19rocblas_tbsv_kernelILb1ELi512EPKfPfEv18rocblas_operation_bbiiT1_lllT2_lll.numbered_sgpr, 68
	.set _ZL19rocblas_tbsv_kernelILb1ELi512EPKfPfEv18rocblas_operation_bbiiT1_lllT2_lll.num_named_barrier, 0
	.set _ZL19rocblas_tbsv_kernelILb1ELi512EPKfPfEv18rocblas_operation_bbiiT1_lllT2_lll.private_seg_size, 0
	.set _ZL19rocblas_tbsv_kernelILb1ELi512EPKfPfEv18rocblas_operation_bbiiT1_lllT2_lll.uses_vcc, 1
	.set _ZL19rocblas_tbsv_kernelILb1ELi512EPKfPfEv18rocblas_operation_bbiiT1_lllT2_lll.uses_flat_scratch, 0
	.set _ZL19rocblas_tbsv_kernelILb1ELi512EPKfPfEv18rocblas_operation_bbiiT1_lllT2_lll.has_dyn_sized_stack, 0
	.set _ZL19rocblas_tbsv_kernelILb1ELi512EPKfPfEv18rocblas_operation_bbiiT1_lllT2_lll.has_recursion, 0
	.set _ZL19rocblas_tbsv_kernelILb1ELi512EPKfPfEv18rocblas_operation_bbiiT1_lllT2_lll.has_indirect_call, 0
	.section	.AMDGPU.csdata,"",@progbits
; Kernel info:
; codeLenInByte = 6152
; TotalNumSgprs: 74
; NumVgprs: 22
; NumAgprs: 0
; TotalNumVgprs: 22
; ScratchSize: 0
; MemoryBound: 0
; FloatMode: 240
; IeeeMode: 1
; LDSByteSize: 8192 bytes/workgroup (compile time only)
; SGPRBlocks: 9
; VGPRBlocks: 2
; NumSGPRsForWavesPerEU: 74
; NumVGPRsForWavesPerEU: 22
; AccumOffset: 24
; Occupancy: 8
; WaveLimiterHint : 0
; COMPUTE_PGM_RSRC2:SCRATCH_EN: 0
; COMPUTE_PGM_RSRC2:USER_SGPR: 2
; COMPUTE_PGM_RSRC2:TRAP_HANDLER: 0
; COMPUTE_PGM_RSRC2:TGID_X_EN: 1
; COMPUTE_PGM_RSRC2:TGID_Y_EN: 0
; COMPUTE_PGM_RSRC2:TGID_Z_EN: 0
; COMPUTE_PGM_RSRC2:TIDIG_COMP_CNT: 0
; COMPUTE_PGM_RSRC3_GFX90A:ACCUM_OFFSET: 5
; COMPUTE_PGM_RSRC3_GFX90A:TG_SPLIT: 0
	.section	.text._ZL19rocblas_tbsv_kernelILb0ELi512EPKfPfEv18rocblas_operation_bbiiT1_lllT2_lll,"axG",@progbits,_ZL19rocblas_tbsv_kernelILb0ELi512EPKfPfEv18rocblas_operation_bbiiT1_lllT2_lll,comdat
	.globl	_ZL19rocblas_tbsv_kernelILb0ELi512EPKfPfEv18rocblas_operation_bbiiT1_lllT2_lll ; -- Begin function _ZL19rocblas_tbsv_kernelILb0ELi512EPKfPfEv18rocblas_operation_bbiiT1_lllT2_lll
	.p2align	8
	.type	_ZL19rocblas_tbsv_kernelILb0ELi512EPKfPfEv18rocblas_operation_bbiiT1_lllT2_lll,@function
_ZL19rocblas_tbsv_kernelILb0ELi512EPKfPfEv18rocblas_operation_bbiiT1_lllT2_lll: ; @_ZL19rocblas_tbsv_kernelILb0ELi512EPKfPfEv18rocblas_operation_bbiiT1_lllT2_lll
; %bb.0:
	s_load_dwordx2 s[38:39], s[0:1], 0x0
	s_load_dwordx4 s[20:23], s[0:1], 0x4
	s_load_dwordx16 s[4:19], s[0:1], 0x10
	s_waitcnt lgkmcnt(0)
	s_bitcmp1_b32 s39, 0
	s_cselect_b64 s[0:1], -1, 0
	s_xor_b64 s[36:37], s[0:1], -1
	s_bitcmp1_b32 s20, 8
	s_mul_i32 s0, s11, s2
	s_mul_hi_u32 s1, s10, s2
	s_cselect_b64 s[24:25], -1, 0
	s_add_i32 s27, s1, s0
	s_mul_i32 s26, s10, s2
	s_lshl_b64 s[28:29], s[26:27], 2
	s_add_u32 s0, s4, s28
	s_addc_u32 s1, s5, s29
	s_lshl_b64 s[30:31], s[6:7], 2
	s_add_u32 s34, s0, s30
	s_addc_u32 s35, s1, s31
	s_mul_i32 s0, s19, s2
	s_mul_hi_u32 s1, s18, s2
	s_add_i32 s1, s1, s0
	s_mul_i32 s0, s18, s2
	s_lshl_b64 s[0:1], s[0:1], 2
	s_add_u32 s2, s12, s0
	s_addc_u32 s3, s13, s1
	s_lshl_b64 s[0:1], s[14:15], 2
	s_add_u32 s10, s2, s0
	s_addc_u32 s11, s3, s1
	s_cmp_gt_i32 s21, 0
	s_cselect_b64 s[12:13], -1, 0
	s_cmpk_lg_i32 s38, 0x6f
	s_mov_b64 s[0:1], -1
	s_cbranch_scc0 .LBB1_109
; %bb.1:
	s_and_b64 vcc, exec, s[36:37]
	s_cbranch_vccz .LBB1_55
; %bb.2:
	s_andn2_b64 vcc, exec, s[12:13]
	s_cbranch_vccnz .LBB1_54
; %bb.3:
	s_add_i32 s33, s21, 0xfffffe00
	s_add_u32 s2, s28, s30
	s_addc_u32 s3, s29, s31
	s_ashr_i32 s1, s21, 31
	s_mov_b32 s0, s21
	s_lshl_b64 s[0:1], s[0:1], 2
	s_add_u32 s0, s2, s0
	s_addc_u32 s1, s3, s1
	s_add_u32 s0, s4, s0
	s_addc_u32 s1, s5, s1
	v_mov_b32_e32 v1, 0x1800
	s_add_u32 s14, s0, 0xfffff800
	v_add_u32_e32 v2, s21, v0
	v_lshl_or_b32 v1, v0, 2, v1
	v_sub_u32_e32 v8, 0, v0
	v_add_u32_e32 v9, 0xfffffe01, v0
	s_addc_u32 s15, s1, -1
	v_add_u32_e32 v10, 0xfffffc00, v2
	s_lshl_b64 s[18:19], s[8:9], 2
	s_xor_b64 s[38:39], s[24:25], -1
	v_mov_b32_e32 v3, 0
	s_mov_b64 s[40:41], 0x800
	s_mov_b32 s20, s21
	s_branch .LBB1_5
.LBB1_4:                                ;   in Loop: Header=BB1_5 Depth=1
	s_or_b64 exec, exec, s[42:43]
	s_addk_i32 s20, 0xfe00
	s_add_u32 s14, s14, 0xfffff800
	s_addc_u32 s15, s15, -1
	v_add_u32_e32 v10, 0xfffffe00, v10
	s_andn2_b64 vcc, exec, s[2:3]
	s_mov_b32 s33, s23
	s_barrier
	s_cbranch_vccz .LBB1_54
.LBB1_5:                                ; =>This Loop Header: Depth=1
                                        ;     Child Loop BB1_10 Depth 2
                                        ;     Child Loop BB1_24 Depth 2
                                        ;       Child Loop BB1_27 Depth 3
	v_add_u32_e32 v11, s33, v0
	v_cmp_gt_i32_e32 vcc, 0, v11
	v_cmp_lt_i32_e64 s[0:1], -1, v11
	s_and_saveexec_b64 s[2:3], s[0:1]
	s_cbranch_execz .LBB1_7
; %bb.6:                                ;   in Loop: Header=BB1_5 Depth=1
	v_mad_u64_u32 v[4:5], s[42:43], s16, v11, 0
	v_mov_b32_e32 v2, v5
	v_mad_u64_u32 v[6:7], s[42:43], s17, v11, v[2:3]
	v_mov_b32_e32 v5, v6
	v_lshl_add_u64 v[4:5], v[4:5], 2, s[10:11]
	global_load_dword v2, v[4:5], off
	s_waitcnt vmcnt(0)
	ds_write_b32 v1, v2
.LBB1_7:                                ;   in Loop: Header=BB1_5 Depth=1
	s_or_b64 exec, exec, s[2:3]
	v_ashrrev_i32_e32 v2, 31, v11
	v_mul_lo_u32 v7, s9, v11
	v_mul_lo_u32 v2, s8, v2
	v_mad_u64_u32 v[4:5], s[2:3], s8, v11, 0
	v_add3_u32 v5, v5, v2, v7
	v_add_u32_e32 v6, s22, v11
	v_lshl_add_u64 v[4:5], v[4:5], 2, s[34:35]
	s_movk_i32 s23, 0x1ff
	s_mov_b32 s44, 0
	s_movk_i32 s45, 0x1ff8
	s_xor_b64 s[42:43], vcc, -1
	s_waitcnt lgkmcnt(0)
	s_barrier
	s_branch .LBB1_10
.LBB1_8:                                ;   in Loop: Header=BB1_10 Depth=2
	s_or_b64 exec, exec, s[2:3]
	s_add_i32 s23, s23, -2
	s_add_i32 s44, s44, -2
	;; [unrolled: 1-line block ×3, first 2 shown]
	s_cmp_eq_u32 s46, 0
	s_cselect_b64 s[2:3], -1, 0
.LBB1_9:                                ;   in Loop: Header=BB1_10 Depth=2
	s_and_b64 vcc, exec, s[2:3]
	s_cbranch_vccnz .LBB1_20
.LBB1_10:                               ;   Parent Loop BB1_5 Depth=1
                                        ; =>  This Inner Loop Header: Depth=2
	s_add_i32 s46, s20, s44
	s_add_i32 s47, s46, -1
	s_cmp_lt_i32 s47, 0
	s_mov_b64 s[2:3], -1
	s_cbranch_scc1 .LBB1_9
; %bb.11:                               ;   in Loop: Header=BB1_10 Depth=2
	v_cmp_eq_u32_e32 vcc, s44, v9
	s_and_b64 s[48:49], s[38:39], vcc
	s_and_saveexec_b64 s[2:3], s[48:49]
	s_cbranch_execz .LBB1_13
; %bb.12:                               ;   in Loop: Header=BB1_10 Depth=2
	s_mul_i32 s48, s9, s47
	s_mul_hi_u32 s49, s8, s47
	s_add_i32 s49, s49, s48
	s_mul_i32 s48, s8, s47
	s_lshl_b64 s[48:49], s[48:49], 2
	s_add_u32 s48, s34, s48
	s_addc_u32 s49, s35, s49
	global_load_dword v2, v3, s[48:49]
	ds_read_b32 v7, v1
	s_waitcnt vmcnt(0) lgkmcnt(0)
	v_div_scale_f32 v12, s[48:49], v2, v2, v7
	v_rcp_f32_e32 v13, v12
	v_div_scale_f32 v14, vcc, v7, v2, v7
	v_fma_f32 v15, -v12, v13, 1.0
	v_fmac_f32_e32 v13, v15, v13
	v_mul_f32_e32 v15, v14, v13
	v_fma_f32 v16, -v12, v15, v14
	v_fmac_f32_e32 v15, v16, v13
	v_fma_f32 v12, -v12, v15, v14
	v_div_fmas_f32 v12, v12, v13, v15
	v_div_fixup_f32 v2, v12, v2, v7
	ds_write_b32 v1, v2
.LBB1_13:                               ;   in Loop: Header=BB1_10 Depth=2
	s_or_b64 exec, exec, s[2:3]
	v_cmp_gt_u32_e32 vcc, s23, v0
	v_cmp_le_i32_e64 s[2:3], s47, v6
	s_and_b64 s[48:49], s[42:43], vcc
	s_and_b64 s[48:49], s[48:49], s[2:3]
	s_waitcnt lgkmcnt(0)
	s_barrier
	s_and_saveexec_b64 s[2:3], s[48:49]
	s_cbranch_execz .LBB1_15
; %bb.14:                               ;   in Loop: Header=BB1_10 Depth=2
	v_add_u32_e32 v2, s44, v8
	v_add_u32_e32 v2, 0x1ff, v2
	v_lshl_add_u64 v[12:13], v[2:3], 2, v[4:5]
	global_load_dword v2, v[12:13], off
	v_mov_b32_e32 v7, s45
	ds_read_b32 v7, v7 offset:4
	ds_read_b32 v12, v1
	s_waitcnt vmcnt(0) lgkmcnt(0)
	v_fma_f32 v2, -v2, v7, v12
	ds_write_b32 v1, v2
.LBB1_15:                               ;   in Loop: Header=BB1_10 Depth=2
	s_or_b64 exec, exec, s[2:3]
	s_add_i32 s47, s46, -2
	s_cmp_lt_i32 s47, 0
	s_mov_b64 s[2:3], -1
	s_cbranch_scc1 .LBB1_9
; %bb.16:                               ;   in Loop: Header=BB1_10 Depth=2
	s_add_i32 s46, s23, -1
	v_cmp_eq_u32_e32 vcc, s46, v0
	s_and_b64 s[48:49], s[38:39], vcc
	s_and_saveexec_b64 s[2:3], s[48:49]
	s_cbranch_execz .LBB1_18
; %bb.17:                               ;   in Loop: Header=BB1_10 Depth=2
	s_mul_i32 s48, s9, s47
	s_mul_hi_u32 s49, s8, s47
	s_add_i32 s49, s49, s48
	s_mul_i32 s48, s8, s47
	s_lshl_b64 s[48:49], s[48:49], 2
	s_add_u32 s48, s34, s48
	s_addc_u32 s49, s35, s49
	global_load_dword v2, v3, s[48:49]
	ds_read_b32 v7, v1
	s_waitcnt vmcnt(0) lgkmcnt(0)
	v_div_scale_f32 v12, s[48:49], v2, v2, v7
	v_rcp_f32_e32 v13, v12
	v_div_scale_f32 v14, vcc, v7, v2, v7
	v_fma_f32 v15, -v12, v13, 1.0
	v_fmac_f32_e32 v13, v15, v13
	v_mul_f32_e32 v15, v14, v13
	v_fma_f32 v16, -v12, v15, v14
	v_fmac_f32_e32 v15, v16, v13
	v_fma_f32 v12, -v12, v15, v14
	v_div_fmas_f32 v12, v12, v13, v15
	v_div_fixup_f32 v2, v12, v2, v7
	ds_write_b32 v1, v2
.LBB1_18:                               ;   in Loop: Header=BB1_10 Depth=2
	s_or_b64 exec, exec, s[2:3]
	v_cmp_gt_u32_e32 vcc, s46, v0
	v_cmp_le_i32_e64 s[2:3], s47, v6
	s_and_b64 s[48:49], s[42:43], vcc
	s_and_b64 s[48:49], s[48:49], s[2:3]
	s_waitcnt lgkmcnt(0)
	s_barrier
	s_and_saveexec_b64 s[2:3], s[48:49]
	s_cbranch_execz .LBB1_8
; %bb.19:                               ;   in Loop: Header=BB1_10 Depth=2
	v_add_u32_e32 v2, s44, v8
	v_add_u32_e32 v2, 0x1fe, v2
	v_lshl_add_u64 v[12:13], v[2:3], 2, v[4:5]
	global_load_dword v2, v[12:13], off
	v_mov_b32_e32 v7, s45
	ds_read_b32 v7, v7
	ds_read_b32 v12, v1
	s_waitcnt vmcnt(0) lgkmcnt(0)
	v_fma_f32 v2, -v2, v7, v12
	ds_write_b32 v1, v2
	s_branch .LBB1_8
.LBB1_20:                               ;   in Loop: Header=BB1_5 Depth=1
	s_add_i32 s23, s33, 0xfffffe00
	s_cmp_lt_i32 s33, 1
	s_cselect_b64 s[2:3], -1, 0
	s_and_b64 vcc, exec, s[2:3]
	s_waitcnt lgkmcnt(0)
	s_barrier
	s_cbranch_vccnz .LBB1_52
; %bb.21:                               ;   in Loop: Header=BB1_5 Depth=1
	v_mad_i64_i32 v[4:5], s[42:43], v10, -4, s[14:15]
	s_mov_b64 s[42:43], 0
	v_mov_b32_e32 v2, v10
	v_mov_b32_e32 v12, v0
	s_mov_b32 s33, s23
                                        ; implicit-def: $sgpr44_sgpr45
	s_branch .LBB1_24
.LBB1_22:                               ;   in Loop: Header=BB1_24 Depth=2
	v_mad_u64_u32 v[6:7], s[48:49], s16, v13, 0
	v_mov_b32_e32 v16, v7
	v_mad_u64_u32 v[16:17], s[48:49], s17, v13, v[16:17]
	v_mov_b32_e32 v7, v16
	v_lshl_add_u64 v[6:7], v[6:7], 2, s[10:11]
	global_load_dword v13, v[6:7], off
	s_add_i32 s50, s33, 0xfffffe00
	s_cmp_lt_i32 s33, 1
	s_cselect_b64 s[48:49], -1, 0
	s_andn2_b64 s[44:45], s[44:45], exec
	s_and_b64 s[48:49], s[48:49], exec
	v_lshl_add_u64 v[4:5], v[4:5], 0, s[40:41]
	v_add_u32_e32 v2, 0xfffffe00, v2
	s_or_b64 s[44:45], s[44:45], s[48:49]
	s_mov_b32 s33, s50
	s_waitcnt vmcnt(0)
	v_sub_f32_e32 v13, v13, v14
	global_store_dword v[6:7], v13, off
.LBB1_23:                               ;   in Loop: Header=BB1_24 Depth=2
	s_or_b64 exec, exec, s[46:47]
	s_and_b64 s[46:47], exec, s[44:45]
	s_or_b64 s[42:43], s[46:47], s[42:43]
	s_andn2_b64 exec, exec, s[42:43]
	s_cbranch_execz .LBB1_51
.LBB1_24:                               ;   Parent Loop BB1_5 Depth=1
                                        ; =>  This Loop Header: Depth=2
                                        ;       Child Loop BB1_27 Depth 3
	v_add_u32_e32 v13, s33, v0
	v_cmp_lt_i32_e32 vcc, -1, v13
	s_or_b64 s[44:45], s[44:45], exec
	s_and_saveexec_b64 s[46:47], vcc
	s_cbranch_execz .LBB1_23
; %bb.25:                               ;   in Loop: Header=BB1_24 Depth=2
	v_mad_u64_u32 v[6:7], s[48:49], s18, v2, v[4:5]
	v_mov_b32_e32 v14, v7
	v_mad_u64_u32 v[14:15], s[48:49], s19, v2, v[14:15]
	v_mov_b32_e32 v7, v14
	v_add_u32_e32 v15, s22, v13
	v_add_u32_e32 v16, 0xfffffdfd, v12
	;; [unrolled: 1-line block ×5, first 2 shown]
	v_mov_b32_e32 v14, 0
	s_mov_b32 s52, 0
	s_movk_i32 s53, 0x1800
	s_branch .LBB1_27
.LBB1_26:                               ;   in Loop: Header=BB1_27 Depth=3
	s_or_b64 exec, exec, s[48:49]
	s_add_i32 s52, s52, 4
	s_add_i32 s53, s53, 16
	s_cmpk_eq_i32 s52, 0x200
	v_lshl_add_u64 v[6:7], v[6:7], 0, 16
	s_cbranch_scc1 .LBB1_22
.LBB1_27:                               ;   Parent Loop BB1_5 Depth=1
                                        ;     Parent Loop BB1_24 Depth=2
                                        ; =>    This Inner Loop Header: Depth=3
	v_cmp_ne_u32_e32 vcc, s52, v12
	s_add_i32 s54, s20, s52
	s_or_b64 s[48:49], s[38:39], vcc
	s_and_saveexec_b64 s[50:51], s[48:49]
	s_xor_b64 s[48:49], exec, s[50:51]
	s_cbranch_execz .LBB1_31
; %bb.28:                               ;   in Loop: Header=BB1_27 Depth=3
	s_add_i32 s50, s54, 0xfffffe00
	v_cmp_le_i32_e32 vcc, s50, v15
	s_and_saveexec_b64 s[50:51], vcc
	s_cbranch_execz .LBB1_30
; %bb.29:                               ;   in Loop: Header=BB1_27 Depth=3
	global_load_dword v19, v[6:7], off
	v_mov_b32_e32 v20, s53
	ds_read_b32 v20, v20
	s_waitcnt vmcnt(0) lgkmcnt(0)
	v_fmac_f32_e32 v14, v19, v20
.LBB1_30:                               ;   in Loop: Header=BB1_27 Depth=3
	s_or_b64 exec, exec, s[50:51]
.LBB1_31:                               ;   in Loop: Header=BB1_27 Depth=3
	s_andn2_saveexec_b64 s[48:49], s[48:49]
	s_cbranch_execz .LBB1_33
; %bb.32:                               ;   in Loop: Header=BB1_27 Depth=3
	v_mov_b32_e32 v19, s53
	ds_read_b32 v19, v19
	s_waitcnt lgkmcnt(0)
	v_add_f32_e32 v14, v14, v19
.LBB1_33:                               ;   in Loop: Header=BB1_27 Depth=3
	s_or_b64 exec, exec, s[48:49]
	v_cmp_ne_u32_e32 vcc, s52, v18
	s_or_b64 s[48:49], s[38:39], vcc
	s_and_saveexec_b64 s[50:51], s[48:49]
	s_xor_b64 s[48:49], exec, s[50:51]
	s_cbranch_execz .LBB1_37
; %bb.34:                               ;   in Loop: Header=BB1_27 Depth=3
	s_add_i32 s50, s54, 0xfffffe01
	v_cmp_le_i32_e32 vcc, s50, v15
	s_and_saveexec_b64 s[50:51], vcc
	s_cbranch_execz .LBB1_36
; %bb.35:                               ;   in Loop: Header=BB1_27 Depth=3
	global_load_dword v19, v[6:7], off offset:4
	v_mov_b32_e32 v20, s53
	ds_read_b32 v20, v20 offset:4
	s_waitcnt vmcnt(0) lgkmcnt(0)
	v_fmac_f32_e32 v14, v19, v20
.LBB1_36:                               ;   in Loop: Header=BB1_27 Depth=3
	s_or_b64 exec, exec, s[50:51]
.LBB1_37:                               ;   in Loop: Header=BB1_27 Depth=3
	s_andn2_saveexec_b64 s[48:49], s[48:49]
	s_cbranch_execz .LBB1_39
; %bb.38:                               ;   in Loop: Header=BB1_27 Depth=3
	v_mov_b32_e32 v19, s53
	ds_read_b32 v19, v19 offset:4
	s_waitcnt lgkmcnt(0)
	v_add_f32_e32 v14, v14, v19
.LBB1_39:                               ;   in Loop: Header=BB1_27 Depth=3
	s_or_b64 exec, exec, s[48:49]
	v_cmp_ne_u32_e32 vcc, s52, v17
	s_or_b64 s[48:49], s[38:39], vcc
	s_and_saveexec_b64 s[50:51], s[48:49]
	s_xor_b64 s[48:49], exec, s[50:51]
	s_cbranch_execz .LBB1_43
; %bb.40:                               ;   in Loop: Header=BB1_27 Depth=3
	s_add_i32 s50, s54, 0xfffffe02
	v_cmp_le_i32_e32 vcc, s50, v15
	s_and_saveexec_b64 s[50:51], vcc
	s_cbranch_execz .LBB1_42
; %bb.41:                               ;   in Loop: Header=BB1_27 Depth=3
	global_load_dword v19, v[6:7], off offset:8
	v_mov_b32_e32 v20, s53
	ds_read_b32 v20, v20 offset:8
	s_waitcnt vmcnt(0) lgkmcnt(0)
	v_fmac_f32_e32 v14, v19, v20
.LBB1_42:                               ;   in Loop: Header=BB1_27 Depth=3
	s_or_b64 exec, exec, s[50:51]
.LBB1_43:                               ;   in Loop: Header=BB1_27 Depth=3
	s_andn2_saveexec_b64 s[48:49], s[48:49]
	s_cbranch_execz .LBB1_45
; %bb.44:                               ;   in Loop: Header=BB1_27 Depth=3
	v_mov_b32_e32 v19, s53
	ds_read_b32 v19, v19 offset:8
	s_waitcnt lgkmcnt(0)
	v_add_f32_e32 v14, v14, v19
.LBB1_45:                               ;   in Loop: Header=BB1_27 Depth=3
	s_or_b64 exec, exec, s[48:49]
	v_cmp_ne_u32_e32 vcc, s52, v16
	s_or_b64 s[48:49], s[38:39], vcc
	s_and_saveexec_b64 s[50:51], s[48:49]
	s_xor_b64 s[48:49], exec, s[50:51]
	s_cbranch_execz .LBB1_49
; %bb.46:                               ;   in Loop: Header=BB1_27 Depth=3
	s_addk_i32 s54, 0xfe03
	v_cmp_le_i32_e32 vcc, s54, v15
	s_and_saveexec_b64 s[50:51], vcc
	s_cbranch_execz .LBB1_48
; %bb.47:                               ;   in Loop: Header=BB1_27 Depth=3
	global_load_dword v19, v[6:7], off offset:12
	v_mov_b32_e32 v20, s53
	ds_read_b32 v20, v20 offset:12
	s_waitcnt vmcnt(0) lgkmcnt(0)
	v_fmac_f32_e32 v14, v19, v20
.LBB1_48:                               ;   in Loop: Header=BB1_27 Depth=3
	s_or_b64 exec, exec, s[50:51]
.LBB1_49:                               ;   in Loop: Header=BB1_27 Depth=3
	s_andn2_saveexec_b64 s[48:49], s[48:49]
	s_cbranch_execz .LBB1_26
; %bb.50:                               ;   in Loop: Header=BB1_27 Depth=3
	v_mov_b32_e32 v19, s53
	ds_read_b32 v19, v19 offset:12
	s_waitcnt lgkmcnt(0)
	v_add_f32_e32 v14, v14, v19
	s_branch .LBB1_26
.LBB1_51:                               ;   in Loop: Header=BB1_5 Depth=1
	s_or_b64 exec, exec, s[42:43]
.LBB1_52:                               ;   in Loop: Header=BB1_5 Depth=1
	s_and_saveexec_b64 s[42:43], s[0:1]
	s_cbranch_execz .LBB1_4
; %bb.53:                               ;   in Loop: Header=BB1_5 Depth=1
	ds_read_b32 v12, v1
	v_mad_u64_u32 v[4:5], s[0:1], s16, v11, 0
	v_mov_b32_e32 v2, v5
	v_mad_u64_u32 v[6:7], s[0:1], s17, v11, v[2:3]
	v_mov_b32_e32 v5, v6
	v_lshl_add_u64 v[4:5], v[4:5], 2, s[10:11]
	s_waitcnt lgkmcnt(0)
	global_store_dword v[4:5], v12, off
	s_branch .LBB1_4
.LBB1_54:
	s_mov_b64 s[0:1], 0
.LBB1_55:
	s_andn2_b64 vcc, exec, s[0:1]
	s_cbranch_vccnz .LBB1_108
; %bb.56:
	s_andn2_b64 vcc, exec, s[12:13]
	s_cbranch_vccnz .LBB1_108
; %bb.57:
	s_ashr_i32 s23, s22, 31
	s_lshl_b64 s[0:1], s[8:9], 2
	s_lshl_b64 s[2:3], s[22:23], 2
	s_add_u32 s20, s28, s2
	s_addc_u32 s23, s29, s3
	s_add_u32 s14, s20, s0
	s_addc_u32 s15, s23, s1
	;; [unrolled: 2-line block ×3, first 2 shown]
	s_lshl_b64 s[18:19], s[8:9], 11
	s_lshl_b64 s[38:39], s[8:9], 3
	s_add_u32 s40, s18, 0x800
	s_addc_u32 s41, s19, 0
	s_add_u32 s33, s0, -4
	s_addc_u32 s42, s1, -1
	s_add_u32 s2, s4, s2
	s_addc_u32 s3, s5, s3
	s_add_u32 s0, s2, s28
	s_addc_u32 s1, s3, s29
	v_mov_b64_e32 v[2:3], s[0:1]
	v_mad_u64_u32 v[2:3], s[0:1], s33, v0, v[2:3]
	v_mov_b32_e32 v4, v3
	v_mad_u64_u32 v[4:5], s[0:1], s42, v0, v[4:5]
	v_or_b32_e32 v10, 0x200, v0
	v_mov_b32_e32 v3, v4
	v_mad_u64_u32 v[4:5], s[0:1], s8, v10, 0
	s_add_u32 s42, s4, s20
	v_mov_b32_e32 v6, v5
	s_addc_u32 s43, s5, s23
	v_mad_u64_u32 v[6:7], s[0:1], s9, v10, v[6:7]
	s_add_u32 s0, s2, s30
	s_addc_u32 s1, s3, s31
	s_add_u32 s0, s0, s28
	s_addc_u32 s1, s1, s29
	v_mov_b32_e32 v1, 0x800
	v_mov_b32_e32 v5, v6
	s_add_u32 s44, s18, 0xfffff800
	v_lshl_or_b32 v1, v0, 2, v1
	v_lshl_add_u64 v[4:5], v[4:5], 2, s[0:1]
	s_addc_u32 s45, s19, -1
	s_mov_b32 s20, 0
	v_mov_b32_e32 v11, 0
	s_xor_b64 s[46:47], s[24:25], -1
	s_branch .LBB1_59
.LBB1_58:                               ;   in Loop: Header=BB1_59 Depth=1
	s_or_b64 exec, exec, s[48:49]
	s_add_u32 s14, s14, s18
	s_addc_u32 s15, s15, s19
	s_add_u32 s42, s42, s18
	v_lshl_add_u64 v[2:3], v[2:3], 0, s[18:19]
	s_addc_u32 s43, s43, s19
	v_lshl_add_u64 v[4:5], v[4:5], 0, s[40:41]
	v_add_u32_e32 v10, 0x200, v10
	s_and_b64 vcc, exec, s[2:3]
	s_mov_b32 s20, s23
	s_barrier
	s_cbranch_vccnz .LBB1_108
.LBB1_59:                               ; =>This Loop Header: Depth=1
                                        ;     Child Loop BB1_63 Depth 2
                                        ;     Child Loop BB1_78 Depth 2
                                        ;       Child Loop BB1_81 Depth 3
	v_add_u32_e32 v12, s20, v0
	v_cmp_le_i32_e32 vcc, s21, v12
	v_cmp_gt_i32_e64 s[0:1], s21, v12
	s_and_saveexec_b64 s[2:3], s[0:1]
	s_cbranch_execz .LBB1_61
; %bb.60:                               ;   in Loop: Header=BB1_59 Depth=1
	v_mad_u64_u32 v[6:7], s[48:49], s16, v12, 0
	v_mov_b32_e32 v8, v7
	v_mad_u64_u32 v[8:9], s[48:49], s17, v12, v[8:9]
	v_mov_b32_e32 v7, v8
	v_lshl_add_u64 v[6:7], v[6:7], 2, s[10:11]
	global_load_dword v6, v[6:7], off
	s_waitcnt vmcnt(0)
	ds_write_b32 v1, v6
.LBB1_61:                               ;   in Loop: Header=BB1_59 Depth=1
	s_or_b64 exec, exec, s[2:3]
	v_subrev_u32_e32 v8, s22, v12
	s_mov_b32 s33, 0
	s_movk_i32 s23, 0x800
	s_xor_b64 s[48:49], vcc, -1
	s_mov_b64 s[52:53], s[42:43]
	v_mov_b64_e32 v[6:7], v[2:3]
	s_mov_b64 s[50:51], s[14:15]
	s_waitcnt lgkmcnt(0)
	s_barrier
	s_branch .LBB1_63
.LBB1_62:                               ;   in Loop: Header=BB1_63 Depth=2
                                        ; implicit-def: $sgpr33
                                        ; implicit-def: $sgpr23
                                        ; implicit-def: $sgpr50_sgpr51
                                        ; implicit-def: $vgpr6_vgpr7
                                        ; implicit-def: $sgpr52_sgpr53
	s_cbranch_execnz .LBB1_74
.LBB1_63:                               ;   Parent Loop BB1_59 Depth=1
                                        ; =>  This Inner Loop Header: Depth=2
	s_add_i32 s54, s20, s33
	s_cmp_ge_i32 s54, s21
	s_cbranch_scc1 .LBB1_62
; %bb.64:                               ;   in Loop: Header=BB1_63 Depth=2
	v_cmp_eq_u32_e32 vcc, s33, v0
	s_and_b64 s[56:57], s[46:47], vcc
	s_and_saveexec_b64 s[2:3], s[56:57]
	s_cbranch_execz .LBB1_66
; %bb.65:                               ;   in Loop: Header=BB1_63 Depth=2
	s_add_u32 s56, s52, s30
	s_addc_u32 s57, s53, s31
	global_load_dword v9, v11, s[56:57]
	ds_read_b32 v13, v1
	s_waitcnt vmcnt(0) lgkmcnt(0)
	v_div_scale_f32 v14, s[56:57], v9, v9, v13
	v_rcp_f32_e32 v15, v14
	v_div_scale_f32 v16, vcc, v13, v9, v13
	v_fma_f32 v17, -v14, v15, 1.0
	v_fmac_f32_e32 v15, v17, v15
	v_mul_f32_e32 v17, v16, v15
	v_fma_f32 v18, -v14, v17, v16
	v_fmac_f32_e32 v17, v18, v15
	v_fma_f32 v14, -v14, v17, v16
	v_div_fmas_f32 v14, v14, v15, v17
	v_div_fixup_f32 v9, v14, v9, v13
	ds_write_b32 v1, v9
.LBB1_66:                               ;   in Loop: Header=BB1_63 Depth=2
	s_or_b64 exec, exec, s[2:3]
	v_cmp_lt_u32_e32 vcc, s33, v0
	v_cmp_ge_i32_e64 s[2:3], s54, v8
	s_and_b64 s[56:57], s[48:49], vcc
	s_and_b64 s[56:57], s[56:57], s[2:3]
	s_waitcnt lgkmcnt(0)
	s_barrier
	s_and_saveexec_b64 s[2:3], s[56:57]
	s_cbranch_execz .LBB1_68
; %bb.67:                               ;   in Loop: Header=BB1_63 Depth=2
	v_lshl_add_u64 v[14:15], v[6:7], 0, s[30:31]
	global_load_dword v9, v[14:15], off
	v_mov_b32_e32 v13, s23
	ds_read_b32 v13, v13
	ds_read_b32 v14, v1
	s_waitcnt vmcnt(0) lgkmcnt(0)
	v_fma_f32 v9, -v9, v13, v14
	ds_write_b32 v1, v9
.LBB1_68:                               ;   in Loop: Header=BB1_63 Depth=2
	s_or_b64 exec, exec, s[2:3]
	s_add_i32 s54, s54, 1
	s_cmp_ge_i32 s54, s21
	s_cbranch_scc1 .LBB1_62
; %bb.69:                               ;   in Loop: Header=BB1_63 Depth=2
	s_add_i32 s33, s33, 1
	v_cmp_eq_u32_e32 vcc, s33, v0
	s_and_b64 s[56:57], s[46:47], vcc
	s_and_saveexec_b64 s[2:3], s[56:57]
	s_cbranch_execz .LBB1_71
; %bb.70:                               ;   in Loop: Header=BB1_63 Depth=2
	s_add_u32 s56, s50, s30
	s_addc_u32 s57, s51, s31
	global_load_dword v9, v11, s[56:57]
	ds_read_b32 v13, v1
	s_waitcnt vmcnt(0) lgkmcnt(0)
	v_div_scale_f32 v14, s[56:57], v9, v9, v13
	v_rcp_f32_e32 v15, v14
	v_div_scale_f32 v16, vcc, v13, v9, v13
	v_fma_f32 v17, -v14, v15, 1.0
	v_fmac_f32_e32 v15, v17, v15
	v_mul_f32_e32 v17, v16, v15
	v_fma_f32 v18, -v14, v17, v16
	v_fmac_f32_e32 v17, v18, v15
	v_fma_f32 v14, -v14, v17, v16
	v_div_fmas_f32 v14, v14, v15, v17
	v_div_fixup_f32 v9, v14, v9, v13
	ds_write_b32 v1, v9
.LBB1_71:                               ;   in Loop: Header=BB1_63 Depth=2
	s_or_b64 exec, exec, s[2:3]
	v_cmp_lt_u32_e32 vcc, s33, v0
	v_cmp_ge_i32_e64 s[2:3], s54, v8
	s_and_b64 s[54:55], s[48:49], vcc
	s_and_b64 s[54:55], s[54:55], s[2:3]
	s_waitcnt lgkmcnt(0)
	s_barrier
	s_and_saveexec_b64 s[2:3], s[54:55]
	s_cbranch_execz .LBB1_73
; %bb.72:                               ;   in Loop: Header=BB1_63 Depth=2
	v_lshl_add_u64 v[14:15], v[6:7], 0, s[30:31]
	global_load_dword v9, v[14:15], off offset:4
	v_mov_b32_e32 v13, s23
	ds_read_b32 v13, v13 offset:4
	ds_read_b32 v14, v1
	s_waitcnt vmcnt(0) lgkmcnt(0)
	v_fma_f32 v9, -v9, v13, v14
	ds_write_b32 v1, v9
.LBB1_73:                               ;   in Loop: Header=BB1_63 Depth=2
	s_or_b64 exec, exec, s[2:3]
	s_add_i32 s23, s23, 8
	s_add_u32 s50, s50, s38
	s_addc_u32 s51, s51, s39
	s_add_u32 s52, s52, s38
	s_addc_u32 s53, s53, s39
	s_add_i32 s33, s33, 1
	s_cmpk_eq_i32 s33, 0x200
	v_lshl_add_u64 v[6:7], v[6:7], 0, 8
	s_cselect_b64 s[2:3], -1, 0
	s_and_b64 vcc, exec, s[2:3]
	s_cbranch_vccz .LBB1_63
.LBB1_74:                               ;   in Loop: Header=BB1_59 Depth=1
	s_add_i32 s23, s20, 0x200
	s_cmp_ge_i32 s23, s21
	s_cselect_b64 s[2:3], -1, 0
	s_and_b64 vcc, exec, s[2:3]
	s_waitcnt lgkmcnt(0)
	s_barrier
	s_cbranch_vccnz .LBB1_106
; %bb.75:                               ;   in Loop: Header=BB1_59 Depth=1
	v_mad_i64_i32 v[6:7], s[48:49], v10, -4, v[4:5]
	s_mov_b64 s[48:49], 0
	v_mov_b32_e32 v13, v0
	s_mov_b32 s33, s23
                                        ; implicit-def: $sgpr50_sgpr51
	s_branch .LBB1_78
.LBB1_76:                               ;   in Loop: Header=BB1_78 Depth=2
	v_mad_u64_u32 v[8:9], s[54:55], s16, v14, 0
	v_mov_b32_e32 v16, v9
	v_mad_u64_u32 v[16:17], s[54:55], s17, v14, v[16:17]
	v_mov_b32_e32 v9, v16
	v_lshl_add_u64 v[8:9], v[8:9], 2, s[10:11]
	global_load_dword v14, v[8:9], off
	s_addk_i32 s33, 0x200
	s_cmp_ge_i32 s33, s21
	s_cselect_b64 s[54:55], -1, 0
	s_andn2_b64 s[50:51], s[50:51], exec
	s_and_b64 s[54:55], s[54:55], exec
	v_lshl_add_u64 v[6:7], v[6:7], 0, s[44:45]
	s_or_b64 s[50:51], s[50:51], s[54:55]
	s_waitcnt vmcnt(0)
	v_sub_f32_e32 v14, v14, v15
	global_store_dword v[8:9], v14, off
.LBB1_77:                               ;   in Loop: Header=BB1_78 Depth=2
	s_or_b64 exec, exec, s[52:53]
	s_and_b64 s[52:53], exec, s[50:51]
	s_or_b64 s[48:49], s[52:53], s[48:49]
	s_andn2_b64 exec, exec, s[48:49]
	s_cbranch_execz .LBB1_105
.LBB1_78:                               ;   Parent Loop BB1_59 Depth=1
                                        ; =>  This Loop Header: Depth=2
                                        ;       Child Loop BB1_81 Depth 3
	v_add_u32_e32 v14, s33, v0
	v_cmp_gt_i32_e32 vcc, s21, v14
	s_or_b64 s[50:51], s[50:51], exec
	s_and_saveexec_b64 s[52:53], vcc
	s_cbranch_execz .LBB1_77
; %bb.79:                               ;   in Loop: Header=BB1_78 Depth=2
	v_subrev_u32_e32 v16, s22, v14
	v_add_u32_e32 v17, 0x1fd, v13
	v_add_u32_e32 v18, 0x1fe, v13
	;; [unrolled: 1-line block ×4, first 2 shown]
	v_mov_b32_e32 v15, 0
	s_mov_b32 s58, 0
	s_movk_i32 s59, 0x800
	v_mov_b64_e32 v[8:9], v[6:7]
	s_branch .LBB1_81
.LBB1_80:                               ;   in Loop: Header=BB1_81 Depth=3
	s_or_b64 exec, exec, s[54:55]
	s_add_i32 s58, s58, 4
	s_add_i32 s59, s59, 16
	s_cmpk_eq_i32 s58, 0x200
	v_lshl_add_u64 v[8:9], v[8:9], 0, 16
	s_cbranch_scc1 .LBB1_76
.LBB1_81:                               ;   Parent Loop BB1_59 Depth=1
                                        ;     Parent Loop BB1_78 Depth=2
                                        ; =>    This Inner Loop Header: Depth=3
	v_cmp_ne_u32_e32 vcc, s58, v13
	s_add_i32 s60, s20, s58
	s_or_b64 s[54:55], s[46:47], vcc
	s_and_saveexec_b64 s[56:57], s[54:55]
	s_xor_b64 s[54:55], exec, s[56:57]
	s_cbranch_execz .LBB1_85
; %bb.82:                               ;   in Loop: Header=BB1_81 Depth=3
	s_cmp_lt_i32 s60, s21
	s_cselect_b64 s[56:57], -1, 0
	v_cmp_ge_i32_e32 vcc, s60, v16
	s_and_b64 s[62:63], s[56:57], vcc
	s_and_saveexec_b64 s[56:57], s[62:63]
	s_cbranch_execz .LBB1_84
; %bb.83:                               ;   in Loop: Header=BB1_81 Depth=3
	global_load_dword v20, v[8:9], off
	v_mov_b32_e32 v21, s59
	ds_read_b32 v21, v21
	s_waitcnt vmcnt(0) lgkmcnt(0)
	v_fmac_f32_e32 v15, v20, v21
.LBB1_84:                               ;   in Loop: Header=BB1_81 Depth=3
	s_or_b64 exec, exec, s[56:57]
.LBB1_85:                               ;   in Loop: Header=BB1_81 Depth=3
	s_andn2_saveexec_b64 s[54:55], s[54:55]
	s_cbranch_execz .LBB1_87
; %bb.86:                               ;   in Loop: Header=BB1_81 Depth=3
	v_mov_b32_e32 v20, s59
	ds_read_b32 v20, v20
	s_waitcnt lgkmcnt(0)
	v_add_f32_e32 v15, v15, v20
.LBB1_87:                               ;   in Loop: Header=BB1_81 Depth=3
	s_or_b64 exec, exec, s[54:55]
	v_cmp_ne_u32_e32 vcc, s58, v19
	s_or_b64 s[54:55], s[46:47], vcc
	s_and_saveexec_b64 s[56:57], s[54:55]
	s_xor_b64 s[54:55], exec, s[56:57]
	s_cbranch_execz .LBB1_91
; %bb.88:                               ;   in Loop: Header=BB1_81 Depth=3
	s_add_i32 s61, s60, 1
	s_cmp_lt_i32 s61, s21
	s_cselect_b64 s[56:57], -1, 0
	v_cmp_ge_i32_e32 vcc, s61, v16
	s_and_b64 s[62:63], s[56:57], vcc
	s_and_saveexec_b64 s[56:57], s[62:63]
	s_cbranch_execz .LBB1_90
; %bb.89:                               ;   in Loop: Header=BB1_81 Depth=3
	global_load_dword v20, v[8:9], off offset:4
	v_mov_b32_e32 v21, s59
	ds_read_b32 v21, v21 offset:4
	s_waitcnt vmcnt(0) lgkmcnt(0)
	v_fmac_f32_e32 v15, v20, v21
.LBB1_90:                               ;   in Loop: Header=BB1_81 Depth=3
	s_or_b64 exec, exec, s[56:57]
.LBB1_91:                               ;   in Loop: Header=BB1_81 Depth=3
	s_andn2_saveexec_b64 s[54:55], s[54:55]
	s_cbranch_execz .LBB1_93
; %bb.92:                               ;   in Loop: Header=BB1_81 Depth=3
	v_mov_b32_e32 v20, s59
	ds_read_b32 v20, v20 offset:4
	s_waitcnt lgkmcnt(0)
	v_add_f32_e32 v15, v15, v20
.LBB1_93:                               ;   in Loop: Header=BB1_81 Depth=3
	s_or_b64 exec, exec, s[54:55]
	v_cmp_ne_u32_e32 vcc, s58, v18
	s_or_b64 s[54:55], s[46:47], vcc
	s_and_saveexec_b64 s[56:57], s[54:55]
	s_xor_b64 s[54:55], exec, s[56:57]
	s_cbranch_execz .LBB1_97
; %bb.94:                               ;   in Loop: Header=BB1_81 Depth=3
	s_add_i32 s61, s60, 2
	s_cmp_lt_i32 s61, s21
	s_cselect_b64 s[56:57], -1, 0
	v_cmp_ge_i32_e32 vcc, s61, v16
	s_and_b64 s[62:63], s[56:57], vcc
	s_and_saveexec_b64 s[56:57], s[62:63]
	s_cbranch_execz .LBB1_96
; %bb.95:                               ;   in Loop: Header=BB1_81 Depth=3
	global_load_dword v20, v[8:9], off offset:8
	v_mov_b32_e32 v21, s59
	ds_read_b32 v21, v21 offset:8
	s_waitcnt vmcnt(0) lgkmcnt(0)
	v_fmac_f32_e32 v15, v20, v21
.LBB1_96:                               ;   in Loop: Header=BB1_81 Depth=3
	s_or_b64 exec, exec, s[56:57]
.LBB1_97:                               ;   in Loop: Header=BB1_81 Depth=3
	s_andn2_saveexec_b64 s[54:55], s[54:55]
	s_cbranch_execz .LBB1_99
; %bb.98:                               ;   in Loop: Header=BB1_81 Depth=3
	v_mov_b32_e32 v20, s59
	ds_read_b32 v20, v20 offset:8
	s_waitcnt lgkmcnt(0)
	v_add_f32_e32 v15, v15, v20
.LBB1_99:                               ;   in Loop: Header=BB1_81 Depth=3
	s_or_b64 exec, exec, s[54:55]
	v_cmp_ne_u32_e32 vcc, s58, v17
	s_or_b64 s[54:55], s[46:47], vcc
	s_and_saveexec_b64 s[56:57], s[54:55]
	s_xor_b64 s[54:55], exec, s[56:57]
	s_cbranch_execz .LBB1_103
; %bb.100:                              ;   in Loop: Header=BB1_81 Depth=3
	s_add_i32 s60, s60, 3
	s_cmp_lt_i32 s60, s21
	s_cselect_b64 s[56:57], -1, 0
	v_cmp_ge_i32_e32 vcc, s60, v16
	s_and_b64 s[60:61], s[56:57], vcc
	s_and_saveexec_b64 s[56:57], s[60:61]
	s_cbranch_execz .LBB1_102
; %bb.101:                              ;   in Loop: Header=BB1_81 Depth=3
	global_load_dword v20, v[8:9], off offset:12
	v_mov_b32_e32 v21, s59
	ds_read_b32 v21, v21 offset:12
	s_waitcnt vmcnt(0) lgkmcnt(0)
	v_fmac_f32_e32 v15, v20, v21
.LBB1_102:                              ;   in Loop: Header=BB1_81 Depth=3
	s_or_b64 exec, exec, s[56:57]
.LBB1_103:                              ;   in Loop: Header=BB1_81 Depth=3
	s_andn2_saveexec_b64 s[54:55], s[54:55]
	s_cbranch_execz .LBB1_80
; %bb.104:                              ;   in Loop: Header=BB1_81 Depth=3
	v_mov_b32_e32 v20, s59
	ds_read_b32 v20, v20 offset:12
	s_waitcnt lgkmcnt(0)
	v_add_f32_e32 v15, v15, v20
	s_branch .LBB1_80
.LBB1_105:                              ;   in Loop: Header=BB1_59 Depth=1
	s_or_b64 exec, exec, s[48:49]
.LBB1_106:                              ;   in Loop: Header=BB1_59 Depth=1
	s_and_saveexec_b64 s[48:49], s[0:1]
	s_cbranch_execz .LBB1_58
; %bb.107:                              ;   in Loop: Header=BB1_59 Depth=1
	ds_read_b32 v13, v1
	v_mad_u64_u32 v[6:7], s[0:1], s16, v12, 0
	v_mov_b32_e32 v8, v7
	v_mad_u64_u32 v[8:9], s[0:1], s17, v12, v[8:9]
	v_mov_b32_e32 v7, v8
	v_lshl_add_u64 v[6:7], v[6:7], 2, s[10:11]
	s_waitcnt lgkmcnt(0)
	global_store_dword v[6:7], v13, off
	s_branch .LBB1_58
.LBB1_108:
	s_mov_b64 s[0:1], 0
.LBB1_109:
	s_andn2_b64 vcc, exec, s[0:1]
	s_cbranch_vccnz .LBB1_183
; %bb.110:
	s_mov_b64 s[0:1], -1
	s_and_b64 vcc, exec, s[36:37]
	s_cbranch_vccz .LBB1_147
; %bb.111:
	s_andn2_b64 vcc, exec, s[12:13]
	s_cbranch_vccnz .LBB1_146
; %bb.112:
	s_lshl_b64 s[14:15], s[8:9], 11
	s_lshl_b64 s[18:19], s[8:9], 2
	s_add_u32 s0, s28, s18
	s_addc_u32 s1, s29, s19
	s_add_u32 s0, s0, s30
	s_addc_u32 s1, s1, s31
	;; [unrolled: 2-line block ×3, first 2 shown]
	s_add_u32 s36, s0, -4
	s_addc_u32 s37, s1, -1
	s_lshl_b64 s[0:1], s[8:9], 3
	s_add_u32 s20, s0, -8
	v_lshlrev_b32_e32 v1, 2, v0
	v_or_b32_e32 v2, 0x200, v0
	s_addc_u32 s23, s1, -1
	s_mov_b32 s33, 0
	s_mov_b64 s[38:39], 0
	s_xor_b64 s[40:41], s[24:25], -1
	v_mov_b32_e32 v5, 0
	s_branch .LBB1_114
.LBB1_113:                              ;   in Loop: Header=BB1_114 Depth=1
	s_or_b64 exec, exec, s[42:43]
	s_add_u32 s34, s34, s14
	s_addc_u32 s35, s35, s15
	s_add_u32 s38, s38, 0xfffffe00
	s_addc_u32 s39, s39, -1
	s_add_u32 s36, s36, s14
	v_add_u32_e32 v2, 0x200, v2
	s_addc_u32 s37, s37, s15
	s_and_b64 vcc, exec, s[2:3]
	s_mov_b32 s33, s60
	s_barrier
	s_cbranch_vccnz .LBB1_146
.LBB1_114:                              ; =>This Loop Header: Depth=1
                                        ;     Child Loop BB1_118 Depth 2
                                        ;     Child Loop BB1_128 Depth 2
                                        ;       Child Loop BB1_131 Depth 3
	v_add_u32_e32 v8, s33, v0
	v_cmp_le_i32_e32 vcc, s21, v8
	v_cmp_gt_i32_e64 s[0:1], s21, v8
	s_and_saveexec_b64 s[2:3], s[0:1]
	s_cbranch_execz .LBB1_116
; %bb.115:                              ;   in Loop: Header=BB1_114 Depth=1
	v_mad_u64_u32 v[6:7], s[42:43], s16, v8, 0
	v_mov_b32_e32 v4, v7
	v_mad_u64_u32 v[10:11], s[42:43], s17, v8, v[4:5]
	v_mov_b32_e32 v7, v10
	v_lshl_add_u64 v[6:7], v[6:7], 2, s[10:11]
	global_load_dword v3, v[6:7], off
	s_waitcnt vmcnt(0)
	ds_write_b32 v1, v3
.LBB1_116:                              ;   in Loop: Header=BB1_114 Depth=1
	s_or_b64 exec, exec, s[2:3]
	v_subrev_u32_e32 v3, s22, v8
	s_mov_b32 s46, 0
	s_xor_b64 s[42:43], vcc, -1
	s_mov_b64 s[44:45], s[34:35]
	v_mov_b32_e32 v4, v0
	s_mov_b32 s47, 0
	s_waitcnt lgkmcnt(0)
	s_barrier
	s_branch .LBB1_118
.LBB1_117:                              ;   in Loop: Header=BB1_118 Depth=2
	s_or_b64 exec, exec, s[2:3]
	s_add_i32 s47, s47, 1
	s_add_i32 s46, s46, 4
	s_add_u32 s44, s44, s18
	s_addc_u32 s45, s45, s19
	s_cmpk_eq_i32 s47, 0x200
	v_add_u32_e32 v4, -1, v4
	s_cselect_b64 s[2:3], -1, 0
	s_and_b64 vcc, exec, s[2:3]
	s_cbranch_vccnz .LBB1_124
.LBB1_118:                              ;   Parent Loop BB1_114 Depth=1
                                        ; =>  This Inner Loop Header: Depth=2
	s_add_i32 s48, s33, s47
	s_cmp_ge_i32 s48, s21
	s_cbranch_scc1 .LBB1_123
; %bb.119:                              ;   in Loop: Header=BB1_118 Depth=2
	v_cmp_eq_u32_e32 vcc, s47, v0
	s_and_b64 s[50:51], s[40:41], vcc
	s_and_saveexec_b64 s[2:3], s[50:51]
	s_cbranch_execz .LBB1_121
; %bb.120:                              ;   in Loop: Header=BB1_118 Depth=2
	global_load_dword v6, v5, s[44:45]
	ds_read_b32 v7, v1
	s_waitcnt vmcnt(0) lgkmcnt(0)
	v_div_scale_f32 v9, s[50:51], v6, v6, v7
	v_rcp_f32_e32 v10, v9
	v_div_scale_f32 v11, vcc, v7, v6, v7
	v_fma_f32 v12, -v9, v10, 1.0
	v_fmac_f32_e32 v10, v12, v10
	v_mul_f32_e32 v12, v11, v10
	v_fma_f32 v13, -v9, v12, v11
	v_fmac_f32_e32 v12, v13, v10
	v_fma_f32 v9, -v9, v12, v11
	v_div_fmas_f32 v9, v9, v10, v12
	v_div_fixup_f32 v6, v9, v6, v7
	ds_write_b32 v1, v6
.LBB1_121:                              ;   in Loop: Header=BB1_118 Depth=2
	s_or_b64 exec, exec, s[2:3]
	v_cmp_lt_u32_e32 vcc, s47, v0
	v_cmp_ge_i32_e64 s[2:3], s48, v3
	s_and_b64 s[48:49], s[42:43], vcc
	s_and_b64 s[48:49], s[48:49], s[2:3]
	s_waitcnt lgkmcnt(0)
	s_barrier
	s_and_saveexec_b64 s[2:3], s[48:49]
	s_cbranch_execz .LBB1_117
; %bb.122:                              ;   in Loop: Header=BB1_118 Depth=2
	v_lshl_add_u64 v[6:7], v[4:5], 2, s[44:45]
	global_load_dword v6, v[6:7], off
	v_mov_b32_e32 v7, s46
	ds_read_b32 v7, v7
	ds_read_b32 v9, v1
	s_waitcnt vmcnt(0) lgkmcnt(0)
	v_fma_f32 v6, -v6, v7, v9
	ds_write_b32 v1, v6
	s_branch .LBB1_117
.LBB1_123:                              ;   in Loop: Header=BB1_118 Depth=2
                                        ; implicit-def: $sgpr47
                                        ; implicit-def: $sgpr46
                                        ; implicit-def: $sgpr44_sgpr45
	s_cbranch_execz .LBB1_118
.LBB1_124:                              ;   in Loop: Header=BB1_114 Depth=1
	s_add_i32 s60, s33, 0x200
	s_cmp_ge_i32 s60, s21
	s_cselect_b64 s[2:3], -1, 0
	s_and_b64 vcc, exec, s[2:3]
	s_waitcnt lgkmcnt(0)
	s_barrier
	s_cbranch_vccnz .LBB1_144
; %bb.125:                              ;   in Loop: Header=BB1_114 Depth=1
	v_ashrrev_i32_e32 v3, 31, v2
	v_lshl_add_u64 v[6:7], s[38:39], 0, v[2:3]
	v_lshlrev_b64 v[6:7], 2, v[6:7]
	s_mov_b64 s[42:43], 0
	s_mov_b64 s[44:45], s[34:35]
	;; [unrolled: 1-line block ×3, first 2 shown]
	v_mov_b32_e32 v3, v0
	s_mov_b32 s61, s60
                                        ; implicit-def: $sgpr48_sgpr49
	s_branch .LBB1_128
.LBB1_126:                              ;   in Loop: Header=BB1_128 Depth=2
	v_mad_u64_u32 v[10:11], s[52:53], s16, v9, 0
	v_mov_b32_e32 v12, v11
	v_mad_u64_u32 v[12:13], s[52:53], s17, v9, v[12:13]
	v_mov_b32_e32 v11, v12
	v_lshl_add_u64 v[10:11], v[10:11], 2, s[10:11]
	global_load_dword v9, v[10:11], off
	s_addk_i32 s61, 0x200
	s_add_u32 s46, s46, 0x800
	s_addc_u32 s47, s47, 0
	s_add_u32 s44, s44, 0x800
	s_addc_u32 s45, s45, 0
	s_cmp_ge_i32 s61, s21
	s_cselect_b64 s[52:53], -1, 0
	s_andn2_b64 s[48:49], s[48:49], exec
	s_and_b64 s[52:53], s[52:53], exec
	s_or_b64 s[48:49], s[48:49], s[52:53]
	s_waitcnt vmcnt(0)
	v_sub_f32_e32 v4, v9, v4
	global_store_dword v[10:11], v4, off
.LBB1_127:                              ;   in Loop: Header=BB1_128 Depth=2
	s_or_b64 exec, exec, s[50:51]
	s_and_b64 s[50:51], exec, s[48:49]
	s_or_b64 s[42:43], s[50:51], s[42:43]
	s_andn2_b64 exec, exec, s[42:43]
	s_cbranch_execz .LBB1_143
.LBB1_128:                              ;   Parent Loop BB1_114 Depth=1
                                        ; =>  This Loop Header: Depth=2
                                        ;       Child Loop BB1_131 Depth 3
	v_add_u32_e32 v9, s61, v0
	v_cmp_gt_i32_e32 vcc, s21, v9
	s_or_b64 s[48:49], s[48:49], exec
	s_and_saveexec_b64 s[50:51], vcc
	s_cbranch_execz .LBB1_127
; %bb.129:                              ;   in Loop: Header=BB1_128 Depth=2
	v_subrev_u32_e32 v10, s22, v9
	v_add_u32_e32 v11, 0x1ff, v3
	v_add_u32_e32 v3, 0x200, v3
	v_mov_b32_e32 v4, 0
	s_mov_b32 s62, 0
	s_mov_b64 s[52:53], s[44:45]
	s_mov_b64 s[54:55], s[46:47]
	s_mov_b32 s63, 0
	s_branch .LBB1_131
.LBB1_130:                              ;   in Loop: Header=BB1_131 Depth=3
	s_or_b64 exec, exec, s[56:57]
	s_add_i32 s63, s63, 2
	s_add_u32 s54, s54, s20
	s_addc_u32 s55, s55, s23
	s_add_i32 s62, s62, 8
	s_add_u32 s52, s52, s20
	s_addc_u32 s53, s53, s23
	s_cmpk_eq_i32 s63, 0x200
	s_cbranch_scc1 .LBB1_126
.LBB1_131:                              ;   Parent Loop BB1_114 Depth=1
                                        ;     Parent Loop BB1_128 Depth=2
                                        ; =>    This Inner Loop Header: Depth=3
	v_cmp_ne_u32_e32 vcc, s63, v3
	s_add_i32 s64, s33, s63
	s_or_b64 s[56:57], s[40:41], vcc
	s_and_saveexec_b64 s[58:59], s[56:57]
	s_xor_b64 s[56:57], exec, s[58:59]
	s_cbranch_execz .LBB1_135
; %bb.132:                              ;   in Loop: Header=BB1_131 Depth=3
	s_cmp_lt_i32 s64, s21
	s_cselect_b64 s[58:59], -1, 0
	v_cmp_ge_i32_e32 vcc, s64, v10
	s_and_b64 s[66:67], s[58:59], vcc
	s_and_saveexec_b64 s[58:59], s[66:67]
	s_cbranch_execz .LBB1_134
; %bb.133:                              ;   in Loop: Header=BB1_131 Depth=3
	v_lshl_add_u64 v[12:13], s[52:53], 0, v[6:7]
	global_load_dword v12, v[12:13], off
	v_mov_b32_e32 v13, s62
	ds_read_b32 v13, v13
	s_waitcnt vmcnt(0) lgkmcnt(0)
	v_fmac_f32_e32 v4, v12, v13
.LBB1_134:                              ;   in Loop: Header=BB1_131 Depth=3
	s_or_b64 exec, exec, s[58:59]
.LBB1_135:                              ;   in Loop: Header=BB1_131 Depth=3
	s_andn2_saveexec_b64 s[56:57], s[56:57]
	s_cbranch_execz .LBB1_137
; %bb.136:                              ;   in Loop: Header=BB1_131 Depth=3
	v_mov_b32_e32 v12, s62
	ds_read_b32 v12, v12
	s_waitcnt lgkmcnt(0)
	v_add_f32_e32 v4, v4, v12
.LBB1_137:                              ;   in Loop: Header=BB1_131 Depth=3
	s_or_b64 exec, exec, s[56:57]
	v_cmp_ne_u32_e32 vcc, s63, v11
	s_or_b64 s[56:57], s[40:41], vcc
	s_and_saveexec_b64 s[58:59], s[56:57]
	s_xor_b64 s[56:57], exec, s[58:59]
	s_cbranch_execz .LBB1_141
; %bb.138:                              ;   in Loop: Header=BB1_131 Depth=3
	s_add_i32 s64, s64, 1
	s_cmp_lt_i32 s64, s21
	s_cselect_b64 s[58:59], -1, 0
	v_cmp_ge_i32_e32 vcc, s64, v10
	s_and_b64 s[64:65], s[58:59], vcc
	s_and_saveexec_b64 s[58:59], s[64:65]
	s_cbranch_execz .LBB1_140
; %bb.139:                              ;   in Loop: Header=BB1_131 Depth=3
	v_lshl_add_u64 v[12:13], s[54:55], 0, v[6:7]
	global_load_dword v12, v[12:13], off
	v_mov_b32_e32 v13, s62
	ds_read_b32 v13, v13 offset:4
	s_waitcnt vmcnt(0) lgkmcnt(0)
	v_fmac_f32_e32 v4, v12, v13
.LBB1_140:                              ;   in Loop: Header=BB1_131 Depth=3
	s_or_b64 exec, exec, s[58:59]
.LBB1_141:                              ;   in Loop: Header=BB1_131 Depth=3
	s_andn2_saveexec_b64 s[56:57], s[56:57]
	s_cbranch_execz .LBB1_130
; %bb.142:                              ;   in Loop: Header=BB1_131 Depth=3
	v_mov_b32_e32 v12, s62
	ds_read_b32 v12, v12 offset:4
	s_waitcnt lgkmcnt(0)
	v_add_f32_e32 v4, v4, v12
	s_branch .LBB1_130
.LBB1_143:                              ;   in Loop: Header=BB1_114 Depth=1
	s_or_b64 exec, exec, s[42:43]
.LBB1_144:                              ;   in Loop: Header=BB1_114 Depth=1
	s_and_saveexec_b64 s[42:43], s[0:1]
	s_cbranch_execz .LBB1_113
; %bb.145:                              ;   in Loop: Header=BB1_114 Depth=1
	ds_read_b32 v3, v1
	v_mad_u64_u32 v[6:7], s[0:1], s16, v8, 0
	v_mov_b32_e32 v4, v7
	v_mad_u64_u32 v[8:9], s[0:1], s17, v8, v[4:5]
	v_mov_b32_e32 v7, v8
	v_lshl_add_u64 v[6:7], v[6:7], 2, s[10:11]
	s_waitcnt lgkmcnt(0)
	global_store_dword v[6:7], v3, off
	s_branch .LBB1_113
.LBB1_146:
	s_mov_b64 s[0:1], 0
.LBB1_147:
	s_andn2_b64 vcc, exec, s[0:1]
	s_cbranch_vccnz .LBB1_183
; %bb.148:
	s_andn2_b64 vcc, exec, s[12:13]
	s_cbranch_vccnz .LBB1_183
; %bb.149:
	s_add_i32 s34, s21, 0xfffffe00
	s_add_i32 s12, s21, -1
	s_add_u32 s2, s28, s30
	s_addc_u32 s3, s29, s31
	s_ashr_i32 s23, s22, 31
	s_lshl_b64 s[0:1], s[22:23], 2
	s_add_u32 s2, s2, s0
	s_addc_u32 s3, s3, s1
	s_ashr_i32 s13, s12, 31
	s_lshl_b64 s[0:1], s[12:13], 2
	s_sub_u32 s0, s2, s0
	s_subb_u32 s1, s3, s1
	s_add_u32 s14, s4, s0
	s_addc_u32 s15, s5, s1
	s_lshl_b64 s[18:19], s[8:9], 2
	s_add_u32 s13, s18, 4
	s_addc_u32 s20, s19, 0
	s_add_u32 s0, s6, s26
	s_addc_u32 s1, s7, s27
	;; [unrolled: 2-line block ×3, first 2 shown]
	s_ashr_i32 s3, s21, 31
	s_mov_b32 s2, s21
	s_lshl_b64 s[0:1], s[0:1], 2
	s_lshl_b64 s[2:3], s[2:3], 2
	s_sub_u32 s0, s0, s2
	s_subb_u32 s1, s1, s3
	s_add_u32 s0, s4, s0
	s_addc_u32 s1, s5, s1
	s_add_u32 s4, s0, 0x7fc
	s_addc_u32 s5, s1, 0
	s_add_i32 s23, s21, 0xfffffe01
	s_add_u32 s33, s0, 0x800
	s_addc_u32 s40, s1, 0
	s_lshl_b64 s[0:1], s[8:9], 3
	v_mov_b32_e32 v1, 0x1000
	v_add_u32_e32 v3, s21, v0
	s_add_u32 s41, s0, -8
	v_lshl_or_b32 v1, v0, 2, v1
	v_add_u32_e32 v2, 0xfffffe00, v3
	v_add_u32_e32 v10, 0xfffffc00, v3
	s_addc_u32 s42, s1, -1
	v_mov_b32_e32 v5, 0
	s_xor_b64 s[6:7], s[24:25], -1
	s_branch .LBB1_151
.LBB1_150:                              ;   in Loop: Header=BB1_151 Depth=1
	s_or_b64 exec, exec, s[8:9]
	s_addk_i32 s12, 0xfe00
	s_add_u32 s14, s14, 0x800
	s_addc_u32 s15, s15, 0
	s_addk_i32 s21, 0xfe00
	s_add_u32 s4, s4, 0x800
	s_addc_u32 s5, s5, 0
	s_addk_i32 s23, 0xfe00
	s_add_u32 s33, s33, 0x800
	v_add_u32_e32 v2, 0xfffffe00, v2
	v_add_u32_e32 v10, 0xfffffe00, v10
	s_addc_u32 s40, s40, 0
	s_and_b64 vcc, exec, s[2:3]
	s_mov_b32 s34, s43
	s_barrier
	s_cbranch_vccnz .LBB1_183
.LBB1_151:                              ; =>This Loop Header: Depth=1
                                        ;     Child Loop BB1_156 Depth 2
                                        ;     Child Loop BB1_165 Depth 2
                                        ;       Child Loop BB1_168 Depth 3
	v_add_u32_e32 v11, s34, v0
	v_cmp_gt_i32_e32 vcc, 0, v11
	v_cmp_lt_i32_e64 s[0:1], -1, v11
	s_and_saveexec_b64 s[2:3], s[0:1]
	s_cbranch_execz .LBB1_153
; %bb.152:                              ;   in Loop: Header=BB1_151 Depth=1
	v_mad_u64_u32 v[6:7], s[8:9], s16, v11, 0
	v_mov_b32_e32 v4, v7
	v_mad_u64_u32 v[8:9], s[8:9], s17, v11, v[4:5]
	v_mov_b32_e32 v7, v8
	v_lshl_add_u64 v[6:7], v[6:7], 2, s[10:11]
	global_load_dword v3, v[6:7], off
	s_waitcnt vmcnt(0)
	ds_write_b32 v1, v3
.LBB1_153:                              ;   in Loop: Header=BB1_151 Depth=1
	s_or_b64 exec, exec, s[2:3]
	v_mov_b32_e32 v3, v5
	v_mov_b64_e32 v[6:7], s[14:15]
	v_lshl_add_u64 v[8:9], v[2:3], 2, s[14:15]
	v_add_u32_e32 v3, s22, v11
	s_movk_i32 s24, 0x1ff
	s_movk_i32 s25, 0x17fc
	s_xor_b64 s[8:9], vcc, -1
	s_mov_b32 s26, s12
	s_waitcnt lgkmcnt(0)
	s_barrier
	s_branch .LBB1_156
.LBB1_154:                              ;   in Loop: Header=BB1_156 Depth=2
	s_or_b64 exec, exec, s[2:3]
	s_add_i32 s24, s24, -1
	s_add_i32 s25, s25, -4
	;; [unrolled: 1-line block ×3, first 2 shown]
	s_cmp_eq_u32 s24, -1
	v_lshl_add_u64 v[8:9], v[8:9], 0, 4
	v_lshl_add_u64 v[6:7], v[6:7], 0, 4
	s_cselect_b64 s[2:3], -1, 0
.LBB1_155:                              ;   in Loop: Header=BB1_156 Depth=2
	s_and_b64 vcc, exec, s[2:3]
	s_cbranch_vccnz .LBB1_161
.LBB1_156:                              ;   Parent Loop BB1_151 Depth=1
                                        ; =>  This Inner Loop Header: Depth=2
	s_add_i32 s27, s12, s24
	s_addk_i32 s27, 0xfe01
	s_cmp_lt_i32 s27, 0
	s_mov_b64 s[2:3], -1
	s_cbranch_scc1 .LBB1_155
; %bb.157:                              ;   in Loop: Header=BB1_156 Depth=2
	v_cmp_eq_u32_e32 vcc, s24, v0
	s_and_b64 s[28:29], s[6:7], vcc
	s_and_saveexec_b64 s[2:3], s[28:29]
	s_cbranch_execz .LBB1_159
; %bb.158:                              ;   in Loop: Header=BB1_156 Depth=2
	s_mul_i32 s28, s20, s26
	s_mul_hi_u32 s29, s13, s26
	s_add_i32 s29, s29, s28
	s_mul_i32 s28, s13, s26
	v_lshl_add_u64 v[12:13], v[6:7], 0, s[28:29]
	global_load_dword v4, v[12:13], off
	ds_read_b32 v12, v1
	s_waitcnt vmcnt(0) lgkmcnt(0)
	v_div_scale_f32 v13, s[28:29], v4, v4, v12
	v_rcp_f32_e32 v14, v13
	v_div_scale_f32 v15, vcc, v12, v4, v12
	v_fma_f32 v16, -v13, v14, 1.0
	v_fmac_f32_e32 v14, v16, v14
	v_mul_f32_e32 v16, v15, v14
	v_fma_f32 v17, -v13, v16, v15
	v_fmac_f32_e32 v16, v17, v14
	v_fma_f32 v13, -v13, v16, v15
	v_div_fmas_f32 v13, v13, v14, v16
	v_div_fixup_f32 v4, v13, v4, v12
	ds_write_b32 v1, v4
.LBB1_159:                              ;   in Loop: Header=BB1_156 Depth=2
	s_or_b64 exec, exec, s[2:3]
	v_cmp_gt_u32_e32 vcc, s24, v0
	v_cmp_le_i32_e64 s[2:3], s27, v3
	s_and_b64 s[28:29], s[8:9], vcc
	s_and_b64 s[28:29], s[28:29], s[2:3]
	s_waitcnt lgkmcnt(0)
	s_barrier
	s_and_saveexec_b64 s[2:3], s[28:29]
	s_cbranch_execz .LBB1_154
; %bb.160:                              ;   in Loop: Header=BB1_156 Depth=2
	v_mov_b32_e32 v4, s26
	v_mad_u64_u32 v[12:13], s[28:29], s18, v4, v[8:9]
	s_mul_i32 s27, s19, s26
	v_add_u32_e32 v13, s27, v13
	global_load_dword v4, v[12:13], off
	v_mov_b32_e32 v12, s25
	ds_read_b32 v12, v12
	ds_read_b32 v13, v1
	s_waitcnt vmcnt(0) lgkmcnt(0)
	v_fma_f32 v4, -v4, v12, v13
	ds_write_b32 v1, v4
	s_branch .LBB1_154
.LBB1_161:                              ;   in Loop: Header=BB1_151 Depth=1
	s_add_i32 s43, s34, 0xfffffe00
	s_cmp_lt_i32 s34, 1
	s_cselect_b64 s[2:3], -1, 0
	s_and_b64 vcc, exec, s[2:3]
	s_waitcnt lgkmcnt(0)
	s_barrier
	s_cbranch_vccnz .LBB1_181
; %bb.162:                              ;   in Loop: Header=BB1_151 Depth=1
	s_mul_i32 s8, s19, s34
	s_mul_hi_u32 s9, s18, s34
	s_add_i32 s9, s9, s8
	s_mul_i32 s8, s18, s34
	s_add_u32 s8, s33, s8
	s_addc_u32 s9, s40, s9
	s_mov_b64 s[24:25], 0
	v_mov_b32_e32 v4, v10
	v_mov_b32_e32 v3, v0
	s_mov_b32 s44, s43
                                        ; implicit-def: $sgpr26_sgpr27
	s_branch .LBB1_165
.LBB1_163:                              ;   in Loop: Header=BB1_165 Depth=2
	v_mad_u64_u32 v[6:7], s[30:31], s16, v8, 0
	v_mov_b32_e32 v12, v7
	v_mad_u64_u32 v[12:13], s[30:31], s17, v8, v[12:13]
	v_mov_b32_e32 v7, v12
	v_lshl_add_u64 v[6:7], v[6:7], 2, s[10:11]
	global_load_dword v8, v[6:7], off
	s_add_i32 s34, s44, 0xfffffe00
	s_cmp_lt_i32 s44, 1
	s_cselect_b64 s[30:31], -1, 0
	s_andn2_b64 s[26:27], s[26:27], exec
	s_and_b64 s[30:31], s[30:31], exec
	v_add_u32_e32 v4, 0xfffffe00, v4
	s_or_b64 s[26:27], s[26:27], s[30:31]
	s_mov_b32 s44, s34
	s_waitcnt vmcnt(0)
	v_sub_f32_e32 v8, v8, v9
	global_store_dword v[6:7], v8, off
.LBB1_164:                              ;   in Loop: Header=BB1_165 Depth=2
	s_or_b64 exec, exec, s[28:29]
	s_and_b64 s[28:29], exec, s[26:27]
	s_or_b64 s[24:25], s[28:29], s[24:25]
	s_andn2_b64 exec, exec, s[24:25]
	s_cbranch_execz .LBB1_180
.LBB1_165:                              ;   Parent Loop BB1_151 Depth=1
                                        ; =>  This Loop Header: Depth=2
                                        ;       Child Loop BB1_168 Depth 3
	v_add_u32_e32 v8, s44, v0
	v_cmp_lt_i32_e32 vcc, -1, v8
	s_or_b64 s[26:27], s[26:27], exec
	s_and_saveexec_b64 s[28:29], vcc
	s_cbranch_execz .LBB1_164
; %bb.166:                              ;   in Loop: Header=BB1_165 Depth=2
	v_lshlrev_b64 v[6:7], 2, v[4:5]
	v_add_u32_e32 v12, s22, v8
	v_add_u32_e32 v13, 0xfffffdff, v3
	;; [unrolled: 1-line block ×3, first 2 shown]
	v_mov_b32_e32 v9, 0
	s_mov_b32 s45, 0
	s_movk_i32 s46, 0x1000
	s_mov_b64 s[30:31], s[8:9]
	s_mov_b32 s47, s23
	s_mov_b64 s[34:35], s[4:5]
	s_branch .LBB1_168
.LBB1_167:                              ;   in Loop: Header=BB1_168 Depth=3
	s_or_b64 exec, exec, s[36:37]
	s_add_i32 s45, s45, 2
	s_add_i32 s46, s46, 8
	s_add_u32 s34, s34, -8
	s_addc_u32 s35, s35, -1
	s_add_i32 s47, s47, 2
	s_add_u32 s30, s30, s41
	s_addc_u32 s31, s31, s42
	s_cmpk_eq_i32 s45, 0x200
	s_cbranch_scc1 .LBB1_163
.LBB1_168:                              ;   Parent Loop BB1_151 Depth=1
                                        ;     Parent Loop BB1_165 Depth=2
                                        ; =>    This Inner Loop Header: Depth=3
	v_cmp_ne_u32_e32 vcc, s45, v3
	s_add_i32 s48, s21, s45
	s_or_b64 s[36:37], s[6:7], vcc
	s_and_saveexec_b64 s[38:39], s[36:37]
	s_xor_b64 s[36:37], exec, s[38:39]
	s_cbranch_execz .LBB1_172
; %bb.169:                              ;   in Loop: Header=BB1_168 Depth=3
	s_add_i32 s38, s48, 0xfffffe00
	v_cmp_le_i32_e32 vcc, s38, v12
	s_and_saveexec_b64 s[38:39], vcc
	s_cbranch_execz .LBB1_171
; %bb.170:                              ;   in Loop: Header=BB1_168 Depth=3
	v_lshl_add_u64 v[14:15], s[30:31], 0, v[6:7]
	global_load_dword v14, v[14:15], off
	v_mov_b32_e32 v15, s46
	ds_read_b32 v15, v15
	s_waitcnt vmcnt(0) lgkmcnt(0)
	v_fmac_f32_e32 v9, v14, v15
.LBB1_171:                              ;   in Loop: Header=BB1_168 Depth=3
	s_or_b64 exec, exec, s[38:39]
.LBB1_172:                              ;   in Loop: Header=BB1_168 Depth=3
	s_andn2_saveexec_b64 s[36:37], s[36:37]
	s_cbranch_execz .LBB1_174
; %bb.173:                              ;   in Loop: Header=BB1_168 Depth=3
	v_mov_b32_e32 v14, s46
	ds_read_b32 v14, v14
	s_waitcnt lgkmcnt(0)
	v_add_f32_e32 v9, v9, v14
.LBB1_174:                              ;   in Loop: Header=BB1_168 Depth=3
	s_or_b64 exec, exec, s[36:37]
	v_cmp_ne_u32_e32 vcc, s45, v13
	s_or_b64 s[36:37], s[6:7], vcc
	s_and_saveexec_b64 s[38:39], s[36:37]
	s_xor_b64 s[36:37], exec, s[38:39]
	s_cbranch_execz .LBB1_178
; %bb.175:                              ;   in Loop: Header=BB1_168 Depth=3
	s_addk_i32 s48, 0xfe01
	v_cmp_le_i32_e32 vcc, s48, v12
	s_and_saveexec_b64 s[38:39], vcc
	s_cbranch_execz .LBB1_177
; %bb.176:                              ;   in Loop: Header=BB1_168 Depth=3
	s_mul_i32 s48, s19, s47
	s_mul_hi_u32 s49, s18, s47
	s_add_i32 s49, s49, s48
	s_mul_i32 s48, s18, s47
	s_add_u32 s48, s34, s48
	s_addc_u32 s49, s35, s49
	v_lshl_add_u64 v[14:15], s[48:49], 0, v[6:7]
	global_load_dword v14, v[14:15], off
	v_mov_b32_e32 v15, s46
	ds_read_b32 v15, v15 offset:4
	s_waitcnt vmcnt(0) lgkmcnt(0)
	v_fmac_f32_e32 v9, v14, v15
.LBB1_177:                              ;   in Loop: Header=BB1_168 Depth=3
	s_or_b64 exec, exec, s[38:39]
.LBB1_178:                              ;   in Loop: Header=BB1_168 Depth=3
	s_andn2_saveexec_b64 s[36:37], s[36:37]
	s_cbranch_execz .LBB1_167
; %bb.179:                              ;   in Loop: Header=BB1_168 Depth=3
	v_mov_b32_e32 v14, s46
	ds_read_b32 v14, v14 offset:4
	s_waitcnt lgkmcnt(0)
	v_add_f32_e32 v9, v9, v14
	s_branch .LBB1_167
.LBB1_180:                              ;   in Loop: Header=BB1_151 Depth=1
	s_or_b64 exec, exec, s[24:25]
.LBB1_181:                              ;   in Loop: Header=BB1_151 Depth=1
	s_and_saveexec_b64 s[8:9], s[0:1]
	s_cbranch_execz .LBB1_150
; %bb.182:                              ;   in Loop: Header=BB1_151 Depth=1
	ds_read_b32 v3, v1
	v_mad_u64_u32 v[6:7], s[0:1], s16, v11, 0
	v_mov_b32_e32 v4, v7
	v_mad_u64_u32 v[8:9], s[0:1], s17, v11, v[4:5]
	v_mov_b32_e32 v7, v8
	v_lshl_add_u64 v[6:7], v[6:7], 2, s[10:11]
	s_waitcnt lgkmcnt(0)
	global_store_dword v[6:7], v3, off
	s_branch .LBB1_150
.LBB1_183:
	s_endpgm
	.section	.rodata,"a",@progbits
	.p2align	6, 0x0
	.amdhsa_kernel _ZL19rocblas_tbsv_kernelILb0ELi512EPKfPfEv18rocblas_operation_bbiiT1_lllT2_lll
		.amdhsa_group_segment_fixed_size 8192
		.amdhsa_private_segment_fixed_size 0
		.amdhsa_kernarg_size 80
		.amdhsa_user_sgpr_count 2
		.amdhsa_user_sgpr_dispatch_ptr 0
		.amdhsa_user_sgpr_queue_ptr 0
		.amdhsa_user_sgpr_kernarg_segment_ptr 1
		.amdhsa_user_sgpr_dispatch_id 0
		.amdhsa_user_sgpr_kernarg_preload_length 0
		.amdhsa_user_sgpr_kernarg_preload_offset 0
		.amdhsa_user_sgpr_private_segment_size 0
		.amdhsa_uses_dynamic_stack 0
		.amdhsa_enable_private_segment 0
		.amdhsa_system_sgpr_workgroup_id_x 1
		.amdhsa_system_sgpr_workgroup_id_y 0
		.amdhsa_system_sgpr_workgroup_id_z 0
		.amdhsa_system_sgpr_workgroup_info 0
		.amdhsa_system_vgpr_workitem_id 0
		.amdhsa_next_free_vgpr 22
		.amdhsa_next_free_sgpr 68
		.amdhsa_accum_offset 24
		.amdhsa_reserve_vcc 1
		.amdhsa_float_round_mode_32 0
		.amdhsa_float_round_mode_16_64 0
		.amdhsa_float_denorm_mode_32 3
		.amdhsa_float_denorm_mode_16_64 3
		.amdhsa_dx10_clamp 1
		.amdhsa_ieee_mode 1
		.amdhsa_fp16_overflow 0
		.amdhsa_tg_split 0
		.amdhsa_exception_fp_ieee_invalid_op 0
		.amdhsa_exception_fp_denorm_src 0
		.amdhsa_exception_fp_ieee_div_zero 0
		.amdhsa_exception_fp_ieee_overflow 0
		.amdhsa_exception_fp_ieee_underflow 0
		.amdhsa_exception_fp_ieee_inexact 0
		.amdhsa_exception_int_div_zero 0
	.end_amdhsa_kernel
	.section	.text._ZL19rocblas_tbsv_kernelILb0ELi512EPKfPfEv18rocblas_operation_bbiiT1_lllT2_lll,"axG",@progbits,_ZL19rocblas_tbsv_kernelILb0ELi512EPKfPfEv18rocblas_operation_bbiiT1_lllT2_lll,comdat
.Lfunc_end1:
	.size	_ZL19rocblas_tbsv_kernelILb0ELi512EPKfPfEv18rocblas_operation_bbiiT1_lllT2_lll, .Lfunc_end1-_ZL19rocblas_tbsv_kernelILb0ELi512EPKfPfEv18rocblas_operation_bbiiT1_lllT2_lll
                                        ; -- End function
	.set _ZL19rocblas_tbsv_kernelILb0ELi512EPKfPfEv18rocblas_operation_bbiiT1_lllT2_lll.num_vgpr, 22
	.set _ZL19rocblas_tbsv_kernelILb0ELi512EPKfPfEv18rocblas_operation_bbiiT1_lllT2_lll.num_agpr, 0
	.set _ZL19rocblas_tbsv_kernelILb0ELi512EPKfPfEv18rocblas_operation_bbiiT1_lllT2_lll.numbered_sgpr, 68
	.set _ZL19rocblas_tbsv_kernelILb0ELi512EPKfPfEv18rocblas_operation_bbiiT1_lllT2_lll.num_named_barrier, 0
	.set _ZL19rocblas_tbsv_kernelILb0ELi512EPKfPfEv18rocblas_operation_bbiiT1_lllT2_lll.private_seg_size, 0
	.set _ZL19rocblas_tbsv_kernelILb0ELi512EPKfPfEv18rocblas_operation_bbiiT1_lllT2_lll.uses_vcc, 1
	.set _ZL19rocblas_tbsv_kernelILb0ELi512EPKfPfEv18rocblas_operation_bbiiT1_lllT2_lll.uses_flat_scratch, 0
	.set _ZL19rocblas_tbsv_kernelILb0ELi512EPKfPfEv18rocblas_operation_bbiiT1_lllT2_lll.has_dyn_sized_stack, 0
	.set _ZL19rocblas_tbsv_kernelILb0ELi512EPKfPfEv18rocblas_operation_bbiiT1_lllT2_lll.has_recursion, 0
	.set _ZL19rocblas_tbsv_kernelILb0ELi512EPKfPfEv18rocblas_operation_bbiiT1_lllT2_lll.has_indirect_call, 0
	.section	.AMDGPU.csdata,"",@progbits
; Kernel info:
; codeLenInByte = 6152
; TotalNumSgprs: 74
; NumVgprs: 22
; NumAgprs: 0
; TotalNumVgprs: 22
; ScratchSize: 0
; MemoryBound: 0
; FloatMode: 240
; IeeeMode: 1
; LDSByteSize: 8192 bytes/workgroup (compile time only)
; SGPRBlocks: 9
; VGPRBlocks: 2
; NumSGPRsForWavesPerEU: 74
; NumVGPRsForWavesPerEU: 22
; AccumOffset: 24
; Occupancy: 8
; WaveLimiterHint : 0
; COMPUTE_PGM_RSRC2:SCRATCH_EN: 0
; COMPUTE_PGM_RSRC2:USER_SGPR: 2
; COMPUTE_PGM_RSRC2:TRAP_HANDLER: 0
; COMPUTE_PGM_RSRC2:TGID_X_EN: 1
; COMPUTE_PGM_RSRC2:TGID_Y_EN: 0
; COMPUTE_PGM_RSRC2:TGID_Z_EN: 0
; COMPUTE_PGM_RSRC2:TIDIG_COMP_CNT: 0
; COMPUTE_PGM_RSRC3_GFX90A:ACCUM_OFFSET: 5
; COMPUTE_PGM_RSRC3_GFX90A:TG_SPLIT: 0
	.section	.text._ZL19rocblas_tbsv_kernelILb1ELi512EPKdPdEv18rocblas_operation_bbiiT1_lllT2_lll,"axG",@progbits,_ZL19rocblas_tbsv_kernelILb1ELi512EPKdPdEv18rocblas_operation_bbiiT1_lllT2_lll,comdat
	.globl	_ZL19rocblas_tbsv_kernelILb1ELi512EPKdPdEv18rocblas_operation_bbiiT1_lllT2_lll ; -- Begin function _ZL19rocblas_tbsv_kernelILb1ELi512EPKdPdEv18rocblas_operation_bbiiT1_lllT2_lll
	.p2align	8
	.type	_ZL19rocblas_tbsv_kernelILb1ELi512EPKdPdEv18rocblas_operation_bbiiT1_lllT2_lll,@function
_ZL19rocblas_tbsv_kernelILb1ELi512EPKdPdEv18rocblas_operation_bbiiT1_lllT2_lll: ; @_ZL19rocblas_tbsv_kernelILb1ELi512EPKdPdEv18rocblas_operation_bbiiT1_lllT2_lll
; %bb.0:
	s_load_dwordx2 s[38:39], s[0:1], 0x0
	s_load_dwordx4 s[20:23], s[0:1], 0x4
	s_load_dwordx16 s[4:19], s[0:1], 0x10
	s_waitcnt lgkmcnt(0)
	s_bitcmp1_b32 s39, 0
	s_cselect_b64 s[0:1], -1, 0
	s_xor_b64 s[36:37], s[0:1], -1
	s_bitcmp1_b32 s20, 8
	s_mul_i32 s0, s11, s2
	s_mul_hi_u32 s1, s10, s2
	s_cselect_b64 s[24:25], -1, 0
	s_add_i32 s27, s1, s0
	s_mul_i32 s26, s10, s2
	s_lshl_b64 s[28:29], s[26:27], 3
	s_add_u32 s0, s4, s28
	s_addc_u32 s1, s5, s29
	s_lshl_b64 s[30:31], s[6:7], 3
	s_add_u32 s34, s0, s30
	s_addc_u32 s35, s1, s31
	s_mul_i32 s0, s19, s2
	s_mul_hi_u32 s1, s18, s2
	s_add_i32 s1, s1, s0
	s_mul_i32 s0, s18, s2
	s_lshl_b64 s[0:1], s[0:1], 3
	s_add_u32 s2, s12, s0
	s_addc_u32 s3, s13, s1
	s_lshl_b64 s[0:1], s[14:15], 3
	s_add_u32 s10, s2, s0
	s_addc_u32 s11, s3, s1
	s_cmp_gt_i32 s21, 0
	s_cselect_b64 s[12:13], -1, 0
	s_cmpk_lg_i32 s38, 0x6f
	s_mov_b64 s[0:1], -1
	s_cbranch_scc0 .LBB2_109
; %bb.1:
	s_and_b64 vcc, exec, s[36:37]
	s_cbranch_vccz .LBB2_55
; %bb.2:
	s_andn2_b64 vcc, exec, s[12:13]
	s_cbranch_vccnz .LBB2_54
; %bb.3:
	s_add_i32 s33, s21, 0xfffffe00
	s_add_u32 s2, s28, s30
	s_addc_u32 s3, s29, s31
	s_ashr_i32 s1, s21, 31
	s_mov_b32 s0, s21
	s_lshl_b64 s[0:1], s[0:1], 3
	s_add_u32 s0, s2, s0
	s_addc_u32 s1, s3, s1
	s_add_u32 s0, s4, s0
	s_addc_u32 s1, s5, s1
	v_mov_b32_e32 v1, 0x3000
	s_add_u32 s14, s0, 0xfffff000
	v_add_u32_e32 v2, s21, v0
	v_lshl_or_b32 v1, v0, 3, v1
	v_sub_u32_e32 v10, 0, v0
	v_add_u32_e32 v11, 0xfffffe01, v0
	s_addc_u32 s15, s1, -1
	v_add_u32_e32 v12, 0xfffffc00, v2
	s_lshl_b64 s[18:19], s[8:9], 3
	s_xor_b64 s[38:39], s[24:25], -1
	v_mov_b32_e32 v3, 0
	s_mov_b64 s[40:41], 0x1000
	s_mov_b32 s20, s21
	s_branch .LBB2_5
.LBB2_4:                                ;   in Loop: Header=BB2_5 Depth=1
	s_or_b64 exec, exec, s[42:43]
	s_addk_i32 s20, 0xfe00
	s_add_u32 s14, s14, 0xfffff000
	s_addc_u32 s15, s15, -1
	v_add_u32_e32 v12, 0xfffffe00, v12
	s_andn2_b64 vcc, exec, s[2:3]
	s_mov_b32 s33, s23
	s_barrier
	s_cbranch_vccz .LBB2_54
.LBB2_5:                                ; =>This Loop Header: Depth=1
                                        ;     Child Loop BB2_10 Depth 2
                                        ;     Child Loop BB2_24 Depth 2
                                        ;       Child Loop BB2_27 Depth 3
	v_add_u32_e32 v13, s33, v0
	v_cmp_gt_i32_e32 vcc, 0, v13
	v_cmp_lt_i32_e64 s[0:1], -1, v13
	s_and_saveexec_b64 s[2:3], s[0:1]
	s_cbranch_execz .LBB2_7
; %bb.6:                                ;   in Loop: Header=BB2_5 Depth=1
	v_mad_u64_u32 v[4:5], s[42:43], s16, v13, 0
	v_mov_b32_e32 v2, v5
	v_mad_u64_u32 v[6:7], s[42:43], s17, v13, v[2:3]
	v_mov_b32_e32 v5, v6
	v_lshl_add_u64 v[4:5], v[4:5], 3, s[10:11]
	global_load_dwordx2 v[4:5], v[4:5], off
	s_waitcnt vmcnt(0)
	ds_write_b64 v1, v[4:5]
.LBB2_7:                                ;   in Loop: Header=BB2_5 Depth=1
	s_or_b64 exec, exec, s[2:3]
	v_ashrrev_i32_e32 v2, 31, v13
	v_mul_lo_u32 v7, s9, v13
	v_mul_lo_u32 v2, s8, v2
	v_mad_u64_u32 v[4:5], s[2:3], s8, v13, 0
	v_add3_u32 v5, v5, v2, v7
	v_add_u32_e32 v6, s22, v13
	v_lshl_add_u64 v[4:5], v[4:5], 3, s[34:35]
	s_movk_i32 s23, 0x1ff
	s_mov_b32 s44, 0
	s_movk_i32 s45, 0x3ff0
	s_xor_b64 s[42:43], vcc, -1
	s_waitcnt lgkmcnt(0)
	s_barrier
	s_branch .LBB2_10
.LBB2_8:                                ;   in Loop: Header=BB2_10 Depth=2
	s_or_b64 exec, exec, s[2:3]
	s_add_i32 s23, s23, -2
	s_add_i32 s44, s44, -2
	;; [unrolled: 1-line block ×3, first 2 shown]
	s_cmp_eq_u32 s46, 0
	s_cselect_b64 s[2:3], -1, 0
.LBB2_9:                                ;   in Loop: Header=BB2_10 Depth=2
	s_and_b64 vcc, exec, s[2:3]
	s_cbranch_vccnz .LBB2_20
.LBB2_10:                               ;   Parent Loop BB2_5 Depth=1
                                        ; =>  This Inner Loop Header: Depth=2
	s_add_i32 s46, s20, s44
	s_add_i32 s47, s46, -1
	s_cmp_lt_i32 s47, 0
	s_mov_b64 s[2:3], -1
	s_cbranch_scc1 .LBB2_9
; %bb.11:                               ;   in Loop: Header=BB2_10 Depth=2
	v_cmp_eq_u32_e32 vcc, s44, v11
	s_and_b64 s[48:49], s[38:39], vcc
	s_and_saveexec_b64 s[2:3], s[48:49]
	s_cbranch_execz .LBB2_13
; %bb.12:                               ;   in Loop: Header=BB2_10 Depth=2
	s_mul_i32 s48, s9, s47
	s_mul_hi_u32 s49, s8, s47
	s_add_i32 s49, s49, s48
	s_mul_i32 s48, s8, s47
	s_lshl_b64 s[48:49], s[48:49], 3
	s_add_u32 s48, s34, s48
	s_addc_u32 s49, s35, s49
	global_load_dwordx2 v[8:9], v3, s[48:49]
	ds_read_b64 v[14:15], v1
	s_waitcnt vmcnt(0) lgkmcnt(0)
	v_div_scale_f64 v[16:17], s[48:49], v[8:9], v[8:9], v[14:15]
	v_rcp_f64_e32 v[18:19], v[16:17]
	v_div_scale_f64 v[20:21], vcc, v[14:15], v[8:9], v[14:15]
	v_fma_f64 v[22:23], -v[16:17], v[18:19], 1.0
	v_fmac_f64_e32 v[18:19], v[18:19], v[22:23]
	v_fma_f64 v[22:23], -v[16:17], v[18:19], 1.0
	v_fmac_f64_e32 v[18:19], v[18:19], v[22:23]
	v_mul_f64 v[22:23], v[20:21], v[18:19]
	v_fma_f64 v[16:17], -v[16:17], v[22:23], v[20:21]
	v_div_fmas_f64 v[16:17], v[16:17], v[18:19], v[22:23]
	v_div_fixup_f64 v[8:9], v[16:17], v[8:9], v[14:15]
	ds_write_b64 v1, v[8:9]
.LBB2_13:                               ;   in Loop: Header=BB2_10 Depth=2
	s_or_b64 exec, exec, s[2:3]
	v_cmp_gt_u32_e32 vcc, s23, v0
	v_cmp_le_i32_e64 s[2:3], s47, v6
	s_and_b64 s[48:49], s[42:43], vcc
	s_and_b64 s[48:49], s[48:49], s[2:3]
	s_waitcnt lgkmcnt(0)
	s_barrier
	s_and_saveexec_b64 s[2:3], s[48:49]
	s_cbranch_execz .LBB2_15
; %bb.14:                               ;   in Loop: Header=BB2_10 Depth=2
	v_add_u32_e32 v2, s44, v10
	v_add_u32_e32 v2, 0x1ff, v2
	v_lshl_add_u64 v[8:9], v[2:3], 3, v[4:5]
	global_load_dwordx2 v[8:9], v[8:9], off
	v_mov_b32_e32 v2, s45
	ds_read_b64 v[14:15], v2 offset:8
	ds_read_b64 v[16:17], v1
	s_waitcnt vmcnt(0) lgkmcnt(0)
	v_fma_f64 v[8:9], -v[8:9], v[14:15], v[16:17]
	ds_write_b64 v1, v[8:9]
.LBB2_15:                               ;   in Loop: Header=BB2_10 Depth=2
	s_or_b64 exec, exec, s[2:3]
	s_add_i32 s47, s46, -2
	s_cmp_lt_i32 s47, 0
	s_mov_b64 s[2:3], -1
	s_cbranch_scc1 .LBB2_9
; %bb.16:                               ;   in Loop: Header=BB2_10 Depth=2
	s_add_i32 s46, s23, -1
	v_cmp_eq_u32_e32 vcc, s46, v0
	s_and_b64 s[48:49], s[38:39], vcc
	s_and_saveexec_b64 s[2:3], s[48:49]
	s_cbranch_execz .LBB2_18
; %bb.17:                               ;   in Loop: Header=BB2_10 Depth=2
	s_mul_i32 s48, s9, s47
	s_mul_hi_u32 s49, s8, s47
	s_add_i32 s49, s49, s48
	s_mul_i32 s48, s8, s47
	s_lshl_b64 s[48:49], s[48:49], 3
	s_add_u32 s48, s34, s48
	s_addc_u32 s49, s35, s49
	global_load_dwordx2 v[8:9], v3, s[48:49]
	ds_read_b64 v[14:15], v1
	s_waitcnt vmcnt(0) lgkmcnt(0)
	v_div_scale_f64 v[16:17], s[48:49], v[8:9], v[8:9], v[14:15]
	v_rcp_f64_e32 v[18:19], v[16:17]
	v_div_scale_f64 v[20:21], vcc, v[14:15], v[8:9], v[14:15]
	v_fma_f64 v[22:23], -v[16:17], v[18:19], 1.0
	v_fmac_f64_e32 v[18:19], v[18:19], v[22:23]
	v_fma_f64 v[22:23], -v[16:17], v[18:19], 1.0
	v_fmac_f64_e32 v[18:19], v[18:19], v[22:23]
	v_mul_f64 v[22:23], v[20:21], v[18:19]
	v_fma_f64 v[16:17], -v[16:17], v[22:23], v[20:21]
	v_div_fmas_f64 v[16:17], v[16:17], v[18:19], v[22:23]
	v_div_fixup_f64 v[8:9], v[16:17], v[8:9], v[14:15]
	ds_write_b64 v1, v[8:9]
.LBB2_18:                               ;   in Loop: Header=BB2_10 Depth=2
	s_or_b64 exec, exec, s[2:3]
	v_cmp_gt_u32_e32 vcc, s46, v0
	v_cmp_le_i32_e64 s[2:3], s47, v6
	s_and_b64 s[48:49], s[42:43], vcc
	s_and_b64 s[48:49], s[48:49], s[2:3]
	s_waitcnt lgkmcnt(0)
	s_barrier
	s_and_saveexec_b64 s[2:3], s[48:49]
	s_cbranch_execz .LBB2_8
; %bb.19:                               ;   in Loop: Header=BB2_10 Depth=2
	v_add_u32_e32 v2, s44, v10
	v_add_u32_e32 v2, 0x1fe, v2
	v_lshl_add_u64 v[8:9], v[2:3], 3, v[4:5]
	global_load_dwordx2 v[8:9], v[8:9], off
	v_mov_b32_e32 v2, s45
	ds_read_b64 v[14:15], v2
	ds_read_b64 v[16:17], v1
	s_waitcnt vmcnt(0) lgkmcnt(0)
	v_fma_f64 v[8:9], -v[8:9], v[14:15], v[16:17]
	ds_write_b64 v1, v[8:9]
	s_branch .LBB2_8
.LBB2_20:                               ;   in Loop: Header=BB2_5 Depth=1
	s_add_i32 s23, s33, 0xfffffe00
	s_cmp_lt_i32 s33, 1
	s_cselect_b64 s[2:3], -1, 0
	s_and_b64 vcc, exec, s[2:3]
	s_waitcnt lgkmcnt(0)
	s_barrier
	s_cbranch_vccnz .LBB2_52
; %bb.21:                               ;   in Loop: Header=BB2_5 Depth=1
	v_mad_i64_i32 v[4:5], s[42:43], v12, -8, s[14:15]
	s_mov_b64 s[42:43], 0
	v_mov_b32_e32 v2, v12
	v_mov_b32_e32 v14, v0
	s_mov_b32 s33, s23
                                        ; implicit-def: $sgpr44_sgpr45
	s_branch .LBB2_24
.LBB2_22:                               ;   in Loop: Header=BB2_24 Depth=2
	v_mad_u64_u32 v[8:9], s[48:49], s16, v15, 0
	v_mov_b32_e32 v16, v9
	v_mad_u64_u32 v[16:17], s[48:49], s17, v15, v[16:17]
	v_mov_b32_e32 v9, v16
	v_lshl_add_u64 v[8:9], v[8:9], 3, s[10:11]
	global_load_dwordx2 v[16:17], v[8:9], off
	s_add_i32 s50, s33, 0xfffffe00
	s_cmp_lt_i32 s33, 1
	s_cselect_b64 s[48:49], -1, 0
	s_andn2_b64 s[44:45], s[44:45], exec
	s_and_b64 s[48:49], s[48:49], exec
	v_lshl_add_u64 v[4:5], v[4:5], 0, s[40:41]
	v_add_u32_e32 v2, 0xfffffe00, v2
	s_or_b64 s[44:45], s[44:45], s[48:49]
	s_mov_b32 s33, s50
	s_waitcnt vmcnt(0)
	v_add_f64 v[6:7], v[16:17], -v[6:7]
	global_store_dwordx2 v[8:9], v[6:7], off
.LBB2_23:                               ;   in Loop: Header=BB2_24 Depth=2
	s_or_b64 exec, exec, s[46:47]
	s_and_b64 s[46:47], exec, s[44:45]
	s_or_b64 s[42:43], s[46:47], s[42:43]
	s_andn2_b64 exec, exec, s[42:43]
	s_cbranch_execz .LBB2_51
.LBB2_24:                               ;   Parent Loop BB2_5 Depth=1
                                        ; =>  This Loop Header: Depth=2
                                        ;       Child Loop BB2_27 Depth 3
	v_add_u32_e32 v15, s33, v0
	v_cmp_lt_i32_e32 vcc, -1, v15
	s_or_b64 s[44:45], s[44:45], exec
	s_and_saveexec_b64 s[46:47], vcc
	s_cbranch_execz .LBB2_23
; %bb.25:                               ;   in Loop: Header=BB2_24 Depth=2
	v_mad_u64_u32 v[8:9], s[48:49], s18, v2, v[4:5]
	v_mov_b32_e32 v6, v9
	v_mad_u64_u32 v[6:7], s[48:49], s19, v2, v[6:7]
	v_mov_b32_e32 v9, v6
	v_add_u32_e32 v16, s22, v15
	v_add_u32_e32 v17, 0xfffffdfd, v14
	;; [unrolled: 1-line block ×5, first 2 shown]
	v_mov_b64_e32 v[6:7], 0
	s_mov_b32 s52, 0
	s_movk_i32 s53, 0x3000
	s_branch .LBB2_27
.LBB2_26:                               ;   in Loop: Header=BB2_27 Depth=3
	s_or_b64 exec, exec, s[48:49]
	s_add_i32 s52, s52, 4
	s_add_i32 s53, s53, 32
	s_cmpk_eq_i32 s52, 0x200
	v_lshl_add_u64 v[8:9], v[8:9], 0, 32
	s_cbranch_scc1 .LBB2_22
.LBB2_27:                               ;   Parent Loop BB2_5 Depth=1
                                        ;     Parent Loop BB2_24 Depth=2
                                        ; =>    This Inner Loop Header: Depth=3
	v_cmp_ne_u32_e32 vcc, s52, v14
	s_add_i32 s54, s20, s52
	s_or_b64 s[48:49], s[38:39], vcc
	s_and_saveexec_b64 s[50:51], s[48:49]
	s_xor_b64 s[48:49], exec, s[50:51]
	s_cbranch_execz .LBB2_31
; %bb.28:                               ;   in Loop: Header=BB2_27 Depth=3
	s_add_i32 s50, s54, 0xfffffe00
	v_cmp_le_i32_e32 vcc, s50, v16
	s_and_saveexec_b64 s[50:51], vcc
	s_cbranch_execz .LBB2_30
; %bb.29:                               ;   in Loop: Header=BB2_27 Depth=3
	global_load_dwordx2 v[20:21], v[8:9], off
	v_mov_b32_e32 v22, s53
	ds_read_b64 v[22:23], v22
	s_waitcnt vmcnt(0) lgkmcnt(0)
	v_fmac_f64_e32 v[6:7], v[20:21], v[22:23]
.LBB2_30:                               ;   in Loop: Header=BB2_27 Depth=3
	s_or_b64 exec, exec, s[50:51]
.LBB2_31:                               ;   in Loop: Header=BB2_27 Depth=3
	s_andn2_saveexec_b64 s[48:49], s[48:49]
	s_cbranch_execz .LBB2_33
; %bb.32:                               ;   in Loop: Header=BB2_27 Depth=3
	v_mov_b32_e32 v20, s53
	ds_read_b64 v[20:21], v20
	s_waitcnt lgkmcnt(0)
	v_add_f64 v[6:7], v[6:7], v[20:21]
.LBB2_33:                               ;   in Loop: Header=BB2_27 Depth=3
	s_or_b64 exec, exec, s[48:49]
	v_cmp_ne_u32_e32 vcc, s52, v19
	s_or_b64 s[48:49], s[38:39], vcc
	s_and_saveexec_b64 s[50:51], s[48:49]
	s_xor_b64 s[48:49], exec, s[50:51]
	s_cbranch_execz .LBB2_37
; %bb.34:                               ;   in Loop: Header=BB2_27 Depth=3
	s_add_i32 s50, s54, 0xfffffe01
	v_cmp_le_i32_e32 vcc, s50, v16
	s_and_saveexec_b64 s[50:51], vcc
	s_cbranch_execz .LBB2_36
; %bb.35:                               ;   in Loop: Header=BB2_27 Depth=3
	global_load_dwordx2 v[20:21], v[8:9], off offset:8
	v_mov_b32_e32 v22, s53
	ds_read_b64 v[22:23], v22 offset:8
	s_waitcnt vmcnt(0) lgkmcnt(0)
	v_fmac_f64_e32 v[6:7], v[20:21], v[22:23]
.LBB2_36:                               ;   in Loop: Header=BB2_27 Depth=3
	s_or_b64 exec, exec, s[50:51]
.LBB2_37:                               ;   in Loop: Header=BB2_27 Depth=3
	s_andn2_saveexec_b64 s[48:49], s[48:49]
	s_cbranch_execz .LBB2_39
; %bb.38:                               ;   in Loop: Header=BB2_27 Depth=3
	v_mov_b32_e32 v20, s53
	ds_read_b64 v[20:21], v20 offset:8
	s_waitcnt lgkmcnt(0)
	v_add_f64 v[6:7], v[6:7], v[20:21]
.LBB2_39:                               ;   in Loop: Header=BB2_27 Depth=3
	s_or_b64 exec, exec, s[48:49]
	v_cmp_ne_u32_e32 vcc, s52, v18
	s_or_b64 s[48:49], s[38:39], vcc
	s_and_saveexec_b64 s[50:51], s[48:49]
	s_xor_b64 s[48:49], exec, s[50:51]
	s_cbranch_execz .LBB2_43
; %bb.40:                               ;   in Loop: Header=BB2_27 Depth=3
	s_add_i32 s50, s54, 0xfffffe02
	v_cmp_le_i32_e32 vcc, s50, v16
	s_and_saveexec_b64 s[50:51], vcc
	s_cbranch_execz .LBB2_42
; %bb.41:                               ;   in Loop: Header=BB2_27 Depth=3
	global_load_dwordx2 v[20:21], v[8:9], off offset:16
	v_mov_b32_e32 v22, s53
	ds_read_b64 v[22:23], v22 offset:16
	s_waitcnt vmcnt(0) lgkmcnt(0)
	v_fmac_f64_e32 v[6:7], v[20:21], v[22:23]
.LBB2_42:                               ;   in Loop: Header=BB2_27 Depth=3
	s_or_b64 exec, exec, s[50:51]
.LBB2_43:                               ;   in Loop: Header=BB2_27 Depth=3
	s_andn2_saveexec_b64 s[48:49], s[48:49]
	s_cbranch_execz .LBB2_45
; %bb.44:                               ;   in Loop: Header=BB2_27 Depth=3
	v_mov_b32_e32 v20, s53
	ds_read_b64 v[20:21], v20 offset:16
	s_waitcnt lgkmcnt(0)
	v_add_f64 v[6:7], v[6:7], v[20:21]
.LBB2_45:                               ;   in Loop: Header=BB2_27 Depth=3
	s_or_b64 exec, exec, s[48:49]
	v_cmp_ne_u32_e32 vcc, s52, v17
	s_or_b64 s[48:49], s[38:39], vcc
	s_and_saveexec_b64 s[50:51], s[48:49]
	s_xor_b64 s[48:49], exec, s[50:51]
	s_cbranch_execz .LBB2_49
; %bb.46:                               ;   in Loop: Header=BB2_27 Depth=3
	s_addk_i32 s54, 0xfe03
	v_cmp_le_i32_e32 vcc, s54, v16
	s_and_saveexec_b64 s[50:51], vcc
	s_cbranch_execz .LBB2_48
; %bb.47:                               ;   in Loop: Header=BB2_27 Depth=3
	global_load_dwordx2 v[20:21], v[8:9], off offset:24
	v_mov_b32_e32 v22, s53
	ds_read_b64 v[22:23], v22 offset:24
	s_waitcnt vmcnt(0) lgkmcnt(0)
	v_fmac_f64_e32 v[6:7], v[20:21], v[22:23]
.LBB2_48:                               ;   in Loop: Header=BB2_27 Depth=3
	s_or_b64 exec, exec, s[50:51]
.LBB2_49:                               ;   in Loop: Header=BB2_27 Depth=3
	s_andn2_saveexec_b64 s[48:49], s[48:49]
	s_cbranch_execz .LBB2_26
; %bb.50:                               ;   in Loop: Header=BB2_27 Depth=3
	v_mov_b32_e32 v20, s53
	ds_read_b64 v[20:21], v20 offset:24
	s_waitcnt lgkmcnt(0)
	v_add_f64 v[6:7], v[6:7], v[20:21]
	s_branch .LBB2_26
.LBB2_51:                               ;   in Loop: Header=BB2_5 Depth=1
	s_or_b64 exec, exec, s[42:43]
.LBB2_52:                               ;   in Loop: Header=BB2_5 Depth=1
	s_and_saveexec_b64 s[42:43], s[0:1]
	s_cbranch_execz .LBB2_4
; %bb.53:                               ;   in Loop: Header=BB2_5 Depth=1
	ds_read_b64 v[4:5], v1
	v_mad_u64_u32 v[6:7], s[0:1], s16, v13, 0
	v_mov_b32_e32 v2, v7
	v_mad_u64_u32 v[8:9], s[0:1], s17, v13, v[2:3]
	v_mov_b32_e32 v7, v8
	v_lshl_add_u64 v[6:7], v[6:7], 3, s[10:11]
	s_waitcnt lgkmcnt(0)
	global_store_dwordx2 v[6:7], v[4:5], off
	s_branch .LBB2_4
.LBB2_54:
	s_mov_b64 s[0:1], 0
.LBB2_55:
	s_andn2_b64 vcc, exec, s[0:1]
	s_cbranch_vccnz .LBB2_108
; %bb.56:
	s_andn2_b64 vcc, exec, s[12:13]
	s_cbranch_vccnz .LBB2_108
; %bb.57:
	s_ashr_i32 s23, s22, 31
	s_lshl_b64 s[0:1], s[8:9], 3
	s_lshl_b64 s[2:3], s[22:23], 3
	s_add_u32 s20, s28, s2
	s_addc_u32 s23, s29, s3
	s_add_u32 s14, s20, s0
	s_addc_u32 s15, s23, s1
	;; [unrolled: 2-line block ×3, first 2 shown]
	s_lshl_b64 s[18:19], s[8:9], 12
	s_lshl_b64 s[38:39], s[8:9], 4
	s_add_u32 s40, s18, 0x1000
	s_addc_u32 s41, s19, 0
	s_add_u32 s33, s0, -8
	s_addc_u32 s42, s1, -1
	s_add_u32 s2, s4, s2
	s_addc_u32 s3, s5, s3
	s_add_u32 s0, s2, s28
	s_addc_u32 s1, s3, s29
	v_mov_b64_e32 v[2:3], s[0:1]
	v_mad_u64_u32 v[2:3], s[0:1], s33, v0, v[2:3]
	v_mov_b32_e32 v4, v3
	v_mad_u64_u32 v[4:5], s[0:1], s42, v0, v[4:5]
	v_or_b32_e32 v12, 0x200, v0
	v_mov_b32_e32 v3, v4
	v_mad_u64_u32 v[4:5], s[0:1], s8, v12, 0
	s_add_u32 s42, s4, s20
	v_mov_b32_e32 v6, v5
	s_addc_u32 s43, s5, s23
	v_mad_u64_u32 v[6:7], s[0:1], s9, v12, v[6:7]
	s_add_u32 s0, s2, s30
	s_addc_u32 s1, s3, s31
	s_add_u32 s0, s0, s28
	s_addc_u32 s1, s1, s29
	v_mov_b32_e32 v1, 0x1000
	v_mov_b32_e32 v5, v6
	s_add_u32 s44, s18, 0xfffff000
	v_lshl_or_b32 v1, v0, 3, v1
	v_lshl_add_u64 v[4:5], v[4:5], 3, s[0:1]
	s_addc_u32 s45, s19, -1
	s_mov_b32 s20, 0
	v_mov_b32_e32 v13, 0
	s_xor_b64 s[46:47], s[24:25], -1
	s_branch .LBB2_59
.LBB2_58:                               ;   in Loop: Header=BB2_59 Depth=1
	s_or_b64 exec, exec, s[48:49]
	s_add_u32 s14, s14, s18
	s_addc_u32 s15, s15, s19
	s_add_u32 s42, s42, s18
	v_lshl_add_u64 v[2:3], v[2:3], 0, s[18:19]
	s_addc_u32 s43, s43, s19
	v_lshl_add_u64 v[4:5], v[4:5], 0, s[40:41]
	v_add_u32_e32 v12, 0x200, v12
	s_and_b64 vcc, exec, s[2:3]
	s_mov_b32 s20, s23
	s_barrier
	s_cbranch_vccnz .LBB2_108
.LBB2_59:                               ; =>This Loop Header: Depth=1
                                        ;     Child Loop BB2_63 Depth 2
                                        ;     Child Loop BB2_78 Depth 2
                                        ;       Child Loop BB2_81 Depth 3
	v_add_u32_e32 v14, s20, v0
	v_cmp_le_i32_e32 vcc, s21, v14
	v_cmp_gt_i32_e64 s[0:1], s21, v14
	s_and_saveexec_b64 s[2:3], s[0:1]
	s_cbranch_execz .LBB2_61
; %bb.60:                               ;   in Loop: Header=BB2_59 Depth=1
	v_mad_u64_u32 v[6:7], s[48:49], s16, v14, 0
	v_mov_b32_e32 v8, v7
	v_mad_u64_u32 v[8:9], s[48:49], s17, v14, v[8:9]
	v_mov_b32_e32 v7, v8
	v_lshl_add_u64 v[6:7], v[6:7], 3, s[10:11]
	global_load_dwordx2 v[6:7], v[6:7], off
	s_waitcnt vmcnt(0)
	ds_write_b64 v1, v[6:7]
.LBB2_61:                               ;   in Loop: Header=BB2_59 Depth=1
	s_or_b64 exec, exec, s[2:3]
	v_subrev_u32_e32 v8, s22, v14
	s_mov_b32 s33, 0
	s_movk_i32 s23, 0x1000
	s_xor_b64 s[48:49], vcc, -1
	s_mov_b64 s[52:53], s[42:43]
	v_mov_b64_e32 v[6:7], v[2:3]
	s_mov_b64 s[50:51], s[14:15]
	s_waitcnt lgkmcnt(0)
	s_barrier
	s_branch .LBB2_63
.LBB2_62:                               ;   in Loop: Header=BB2_63 Depth=2
                                        ; implicit-def: $sgpr33
                                        ; implicit-def: $sgpr23
                                        ; implicit-def: $sgpr50_sgpr51
                                        ; implicit-def: $vgpr6_vgpr7
                                        ; implicit-def: $sgpr52_sgpr53
	s_cbranch_execnz .LBB2_74
.LBB2_63:                               ;   Parent Loop BB2_59 Depth=1
                                        ; =>  This Inner Loop Header: Depth=2
	s_add_i32 s54, s20, s33
	s_cmp_ge_i32 s54, s21
	s_cbranch_scc1 .LBB2_62
; %bb.64:                               ;   in Loop: Header=BB2_63 Depth=2
	v_cmp_eq_u32_e32 vcc, s33, v0
	s_and_b64 s[56:57], s[46:47], vcc
	s_and_saveexec_b64 s[2:3], s[56:57]
	s_cbranch_execz .LBB2_66
; %bb.65:                               ;   in Loop: Header=BB2_63 Depth=2
	s_add_u32 s56, s52, s30
	s_addc_u32 s57, s53, s31
	global_load_dwordx2 v[10:11], v13, s[56:57]
	ds_read_b64 v[16:17], v1
	s_waitcnt vmcnt(0) lgkmcnt(0)
	v_div_scale_f64 v[18:19], s[56:57], v[10:11], v[10:11], v[16:17]
	v_rcp_f64_e32 v[20:21], v[18:19]
	v_div_scale_f64 v[22:23], vcc, v[16:17], v[10:11], v[16:17]
	v_fma_f64 v[24:25], -v[18:19], v[20:21], 1.0
	v_fmac_f64_e32 v[20:21], v[20:21], v[24:25]
	v_fma_f64 v[24:25], -v[18:19], v[20:21], 1.0
	v_fmac_f64_e32 v[20:21], v[20:21], v[24:25]
	v_mul_f64 v[24:25], v[22:23], v[20:21]
	v_fma_f64 v[18:19], -v[18:19], v[24:25], v[22:23]
	v_div_fmas_f64 v[18:19], v[18:19], v[20:21], v[24:25]
	v_div_fixup_f64 v[10:11], v[18:19], v[10:11], v[16:17]
	ds_write_b64 v1, v[10:11]
.LBB2_66:                               ;   in Loop: Header=BB2_63 Depth=2
	s_or_b64 exec, exec, s[2:3]
	v_cmp_lt_u32_e32 vcc, s33, v0
	v_cmp_ge_i32_e64 s[2:3], s54, v8
	s_and_b64 s[56:57], s[48:49], vcc
	s_and_b64 s[56:57], s[56:57], s[2:3]
	s_waitcnt lgkmcnt(0)
	s_barrier
	s_and_saveexec_b64 s[2:3], s[56:57]
	s_cbranch_execz .LBB2_68
; %bb.67:                               ;   in Loop: Header=BB2_63 Depth=2
	v_lshl_add_u64 v[10:11], v[6:7], 0, s[30:31]
	global_load_dwordx2 v[10:11], v[10:11], off
	v_mov_b32_e32 v9, s23
	ds_read_b64 v[16:17], v9
	ds_read_b64 v[18:19], v1
	s_waitcnt vmcnt(0) lgkmcnt(0)
	v_fma_f64 v[10:11], -v[10:11], v[16:17], v[18:19]
	ds_write_b64 v1, v[10:11]
.LBB2_68:                               ;   in Loop: Header=BB2_63 Depth=2
	s_or_b64 exec, exec, s[2:3]
	s_add_i32 s54, s54, 1
	s_cmp_ge_i32 s54, s21
	s_cbranch_scc1 .LBB2_62
; %bb.69:                               ;   in Loop: Header=BB2_63 Depth=2
	s_add_i32 s33, s33, 1
	v_cmp_eq_u32_e32 vcc, s33, v0
	s_and_b64 s[56:57], s[46:47], vcc
	s_and_saveexec_b64 s[2:3], s[56:57]
	s_cbranch_execz .LBB2_71
; %bb.70:                               ;   in Loop: Header=BB2_63 Depth=2
	s_add_u32 s56, s50, s30
	s_addc_u32 s57, s51, s31
	global_load_dwordx2 v[10:11], v13, s[56:57]
	ds_read_b64 v[16:17], v1
	s_waitcnt vmcnt(0) lgkmcnt(0)
	v_div_scale_f64 v[18:19], s[56:57], v[10:11], v[10:11], v[16:17]
	v_rcp_f64_e32 v[20:21], v[18:19]
	v_div_scale_f64 v[22:23], vcc, v[16:17], v[10:11], v[16:17]
	v_fma_f64 v[24:25], -v[18:19], v[20:21], 1.0
	v_fmac_f64_e32 v[20:21], v[20:21], v[24:25]
	v_fma_f64 v[24:25], -v[18:19], v[20:21], 1.0
	v_fmac_f64_e32 v[20:21], v[20:21], v[24:25]
	v_mul_f64 v[24:25], v[22:23], v[20:21]
	v_fma_f64 v[18:19], -v[18:19], v[24:25], v[22:23]
	v_div_fmas_f64 v[18:19], v[18:19], v[20:21], v[24:25]
	v_div_fixup_f64 v[10:11], v[18:19], v[10:11], v[16:17]
	ds_write_b64 v1, v[10:11]
.LBB2_71:                               ;   in Loop: Header=BB2_63 Depth=2
	s_or_b64 exec, exec, s[2:3]
	v_cmp_lt_u32_e32 vcc, s33, v0
	v_cmp_ge_i32_e64 s[2:3], s54, v8
	s_and_b64 s[54:55], s[48:49], vcc
	s_and_b64 s[54:55], s[54:55], s[2:3]
	s_waitcnt lgkmcnt(0)
	s_barrier
	s_and_saveexec_b64 s[2:3], s[54:55]
	s_cbranch_execz .LBB2_73
; %bb.72:                               ;   in Loop: Header=BB2_63 Depth=2
	v_lshl_add_u64 v[10:11], v[6:7], 0, s[30:31]
	global_load_dwordx2 v[10:11], v[10:11], off offset:8
	v_mov_b32_e32 v9, s23
	ds_read_b64 v[16:17], v9 offset:8
	ds_read_b64 v[18:19], v1
	s_waitcnt vmcnt(0) lgkmcnt(0)
	v_fma_f64 v[10:11], -v[10:11], v[16:17], v[18:19]
	ds_write_b64 v1, v[10:11]
.LBB2_73:                               ;   in Loop: Header=BB2_63 Depth=2
	s_or_b64 exec, exec, s[2:3]
	s_add_i32 s23, s23, 16
	s_add_u32 s50, s50, s38
	s_addc_u32 s51, s51, s39
	s_add_u32 s52, s52, s38
	s_addc_u32 s53, s53, s39
	s_add_i32 s33, s33, 1
	s_cmpk_eq_i32 s33, 0x200
	v_lshl_add_u64 v[6:7], v[6:7], 0, 16
	s_cselect_b64 s[2:3], -1, 0
	s_and_b64 vcc, exec, s[2:3]
	s_cbranch_vccz .LBB2_63
.LBB2_74:                               ;   in Loop: Header=BB2_59 Depth=1
	s_add_i32 s23, s20, 0x200
	s_cmp_ge_i32 s23, s21
	s_cselect_b64 s[2:3], -1, 0
	s_and_b64 vcc, exec, s[2:3]
	s_waitcnt lgkmcnt(0)
	s_barrier
	s_cbranch_vccnz .LBB2_106
; %bb.75:                               ;   in Loop: Header=BB2_59 Depth=1
	v_mad_i64_i32 v[6:7], s[48:49], v12, -8, v[4:5]
	s_mov_b64 s[48:49], 0
	v_mov_b32_e32 v15, v0
	s_mov_b32 s33, s23
                                        ; implicit-def: $sgpr50_sgpr51
	s_branch .LBB2_78
.LBB2_76:                               ;   in Loop: Header=BB2_78 Depth=2
	v_mad_u64_u32 v[10:11], s[54:55], s16, v16, 0
	v_mov_b32_e32 v18, v11
	v_mad_u64_u32 v[16:17], s[54:55], s17, v16, v[18:19]
	v_mov_b32_e32 v11, v16
	v_lshl_add_u64 v[10:11], v[10:11], 3, s[10:11]
	global_load_dwordx2 v[16:17], v[10:11], off
	s_addk_i32 s33, 0x200
	s_cmp_ge_i32 s33, s21
	s_cselect_b64 s[54:55], -1, 0
	s_andn2_b64 s[50:51], s[50:51], exec
	s_and_b64 s[54:55], s[54:55], exec
	v_lshl_add_u64 v[6:7], v[6:7], 0, s[44:45]
	s_or_b64 s[50:51], s[50:51], s[54:55]
	s_waitcnt vmcnt(0)
	v_add_f64 v[8:9], v[16:17], -v[8:9]
	global_store_dwordx2 v[10:11], v[8:9], off
.LBB2_77:                               ;   in Loop: Header=BB2_78 Depth=2
	s_or_b64 exec, exec, s[52:53]
	s_and_b64 s[52:53], exec, s[50:51]
	s_or_b64 s[48:49], s[52:53], s[48:49]
	s_andn2_b64 exec, exec, s[48:49]
	s_cbranch_execz .LBB2_105
.LBB2_78:                               ;   Parent Loop BB2_59 Depth=1
                                        ; =>  This Loop Header: Depth=2
                                        ;       Child Loop BB2_81 Depth 3
	v_add_u32_e32 v16, s33, v0
	v_cmp_gt_i32_e32 vcc, s21, v16
	s_or_b64 s[50:51], s[50:51], exec
	s_and_saveexec_b64 s[52:53], vcc
	s_cbranch_execz .LBB2_77
; %bb.79:                               ;   in Loop: Header=BB2_78 Depth=2
	v_subrev_u32_e32 v17, s22, v16
	v_add_u32_e32 v18, 0x1fd, v15
	v_add_u32_e32 v19, 0x1fe, v15
	;; [unrolled: 1-line block ×4, first 2 shown]
	v_mov_b64_e32 v[8:9], 0
	s_mov_b32 s58, 0
	s_movk_i32 s59, 0x1000
	v_mov_b64_e32 v[10:11], v[6:7]
	s_branch .LBB2_81
.LBB2_80:                               ;   in Loop: Header=BB2_81 Depth=3
	s_or_b64 exec, exec, s[54:55]
	s_add_i32 s58, s58, 4
	s_add_i32 s59, s59, 32
	s_cmpk_eq_i32 s58, 0x200
	v_lshl_add_u64 v[10:11], v[10:11], 0, 32
	s_cbranch_scc1 .LBB2_76
.LBB2_81:                               ;   Parent Loop BB2_59 Depth=1
                                        ;     Parent Loop BB2_78 Depth=2
                                        ; =>    This Inner Loop Header: Depth=3
	v_cmp_ne_u32_e32 vcc, s58, v15
	s_add_i32 s60, s20, s58
	s_or_b64 s[54:55], s[46:47], vcc
	s_and_saveexec_b64 s[56:57], s[54:55]
	s_xor_b64 s[54:55], exec, s[56:57]
	s_cbranch_execz .LBB2_85
; %bb.82:                               ;   in Loop: Header=BB2_81 Depth=3
	s_cmp_lt_i32 s60, s21
	s_cselect_b64 s[56:57], -1, 0
	v_cmp_ge_i32_e32 vcc, s60, v17
	s_and_b64 s[62:63], s[56:57], vcc
	s_and_saveexec_b64 s[56:57], s[62:63]
	s_cbranch_execz .LBB2_84
; %bb.83:                               ;   in Loop: Header=BB2_81 Depth=3
	global_load_dwordx2 v[22:23], v[10:11], off
	v_mov_b32_e32 v21, s59
	ds_read_b64 v[24:25], v21
	s_waitcnt vmcnt(0) lgkmcnt(0)
	v_fmac_f64_e32 v[8:9], v[22:23], v[24:25]
.LBB2_84:                               ;   in Loop: Header=BB2_81 Depth=3
	s_or_b64 exec, exec, s[56:57]
.LBB2_85:                               ;   in Loop: Header=BB2_81 Depth=3
	s_andn2_saveexec_b64 s[54:55], s[54:55]
	s_cbranch_execz .LBB2_87
; %bb.86:                               ;   in Loop: Header=BB2_81 Depth=3
	v_mov_b32_e32 v21, s59
	ds_read_b64 v[22:23], v21
	s_waitcnt lgkmcnt(0)
	v_add_f64 v[8:9], v[8:9], v[22:23]
.LBB2_87:                               ;   in Loop: Header=BB2_81 Depth=3
	s_or_b64 exec, exec, s[54:55]
	v_cmp_ne_u32_e32 vcc, s58, v20
	s_or_b64 s[54:55], s[46:47], vcc
	s_and_saveexec_b64 s[56:57], s[54:55]
	s_xor_b64 s[54:55], exec, s[56:57]
	s_cbranch_execz .LBB2_91
; %bb.88:                               ;   in Loop: Header=BB2_81 Depth=3
	s_add_i32 s61, s60, 1
	s_cmp_lt_i32 s61, s21
	s_cselect_b64 s[56:57], -1, 0
	v_cmp_ge_i32_e32 vcc, s61, v17
	s_and_b64 s[62:63], s[56:57], vcc
	s_and_saveexec_b64 s[56:57], s[62:63]
	s_cbranch_execz .LBB2_90
; %bb.89:                               ;   in Loop: Header=BB2_81 Depth=3
	global_load_dwordx2 v[22:23], v[10:11], off offset:8
	v_mov_b32_e32 v21, s59
	ds_read_b64 v[24:25], v21 offset:8
	s_waitcnt vmcnt(0) lgkmcnt(0)
	v_fmac_f64_e32 v[8:9], v[22:23], v[24:25]
.LBB2_90:                               ;   in Loop: Header=BB2_81 Depth=3
	s_or_b64 exec, exec, s[56:57]
.LBB2_91:                               ;   in Loop: Header=BB2_81 Depth=3
	s_andn2_saveexec_b64 s[54:55], s[54:55]
	s_cbranch_execz .LBB2_93
; %bb.92:                               ;   in Loop: Header=BB2_81 Depth=3
	v_mov_b32_e32 v21, s59
	ds_read_b64 v[22:23], v21 offset:8
	s_waitcnt lgkmcnt(0)
	v_add_f64 v[8:9], v[8:9], v[22:23]
.LBB2_93:                               ;   in Loop: Header=BB2_81 Depth=3
	s_or_b64 exec, exec, s[54:55]
	v_cmp_ne_u32_e32 vcc, s58, v19
	s_or_b64 s[54:55], s[46:47], vcc
	s_and_saveexec_b64 s[56:57], s[54:55]
	s_xor_b64 s[54:55], exec, s[56:57]
	s_cbranch_execz .LBB2_97
; %bb.94:                               ;   in Loop: Header=BB2_81 Depth=3
	s_add_i32 s61, s60, 2
	s_cmp_lt_i32 s61, s21
	s_cselect_b64 s[56:57], -1, 0
	v_cmp_ge_i32_e32 vcc, s61, v17
	s_and_b64 s[62:63], s[56:57], vcc
	s_and_saveexec_b64 s[56:57], s[62:63]
	s_cbranch_execz .LBB2_96
; %bb.95:                               ;   in Loop: Header=BB2_81 Depth=3
	global_load_dwordx2 v[22:23], v[10:11], off offset:16
	v_mov_b32_e32 v21, s59
	ds_read_b64 v[24:25], v21 offset:16
	s_waitcnt vmcnt(0) lgkmcnt(0)
	v_fmac_f64_e32 v[8:9], v[22:23], v[24:25]
.LBB2_96:                               ;   in Loop: Header=BB2_81 Depth=3
	s_or_b64 exec, exec, s[56:57]
.LBB2_97:                               ;   in Loop: Header=BB2_81 Depth=3
	s_andn2_saveexec_b64 s[54:55], s[54:55]
	s_cbranch_execz .LBB2_99
; %bb.98:                               ;   in Loop: Header=BB2_81 Depth=3
	v_mov_b32_e32 v21, s59
	ds_read_b64 v[22:23], v21 offset:16
	s_waitcnt lgkmcnt(0)
	v_add_f64 v[8:9], v[8:9], v[22:23]
.LBB2_99:                               ;   in Loop: Header=BB2_81 Depth=3
	s_or_b64 exec, exec, s[54:55]
	v_cmp_ne_u32_e32 vcc, s58, v18
	s_or_b64 s[54:55], s[46:47], vcc
	s_and_saveexec_b64 s[56:57], s[54:55]
	s_xor_b64 s[54:55], exec, s[56:57]
	s_cbranch_execz .LBB2_103
; %bb.100:                              ;   in Loop: Header=BB2_81 Depth=3
	s_add_i32 s60, s60, 3
	s_cmp_lt_i32 s60, s21
	s_cselect_b64 s[56:57], -1, 0
	v_cmp_ge_i32_e32 vcc, s60, v17
	s_and_b64 s[60:61], s[56:57], vcc
	s_and_saveexec_b64 s[56:57], s[60:61]
	s_cbranch_execz .LBB2_102
; %bb.101:                              ;   in Loop: Header=BB2_81 Depth=3
	global_load_dwordx2 v[22:23], v[10:11], off offset:24
	v_mov_b32_e32 v21, s59
	ds_read_b64 v[24:25], v21 offset:24
	s_waitcnt vmcnt(0) lgkmcnt(0)
	v_fmac_f64_e32 v[8:9], v[22:23], v[24:25]
.LBB2_102:                              ;   in Loop: Header=BB2_81 Depth=3
	s_or_b64 exec, exec, s[56:57]
.LBB2_103:                              ;   in Loop: Header=BB2_81 Depth=3
	s_andn2_saveexec_b64 s[54:55], s[54:55]
	s_cbranch_execz .LBB2_80
; %bb.104:                              ;   in Loop: Header=BB2_81 Depth=3
	v_mov_b32_e32 v21, s59
	ds_read_b64 v[22:23], v21 offset:24
	s_waitcnt lgkmcnt(0)
	v_add_f64 v[8:9], v[8:9], v[22:23]
	s_branch .LBB2_80
.LBB2_105:                              ;   in Loop: Header=BB2_59 Depth=1
	s_or_b64 exec, exec, s[48:49]
.LBB2_106:                              ;   in Loop: Header=BB2_59 Depth=1
	s_and_saveexec_b64 s[48:49], s[0:1]
	s_cbranch_execz .LBB2_58
; %bb.107:                              ;   in Loop: Header=BB2_59 Depth=1
	ds_read_b64 v[6:7], v1
	v_mad_u64_u32 v[8:9], s[0:1], s16, v14, 0
	v_mov_b32_e32 v10, v9
	v_mad_u64_u32 v[10:11], s[0:1], s17, v14, v[10:11]
	v_mov_b32_e32 v9, v10
	v_lshl_add_u64 v[8:9], v[8:9], 3, s[10:11]
	s_waitcnt lgkmcnt(0)
	global_store_dwordx2 v[8:9], v[6:7], off
	s_branch .LBB2_58
.LBB2_108:
	s_mov_b64 s[0:1], 0
.LBB2_109:
	s_andn2_b64 vcc, exec, s[0:1]
	s_cbranch_vccnz .LBB2_183
; %bb.110:
	s_mov_b64 s[0:1], -1
	s_and_b64 vcc, exec, s[36:37]
	s_cbranch_vccz .LBB2_147
; %bb.111:
	s_andn2_b64 vcc, exec, s[12:13]
	s_cbranch_vccnz .LBB2_146
; %bb.112:
	s_lshl_b64 s[14:15], s[8:9], 12
	s_lshl_b64 s[18:19], s[8:9], 3
	s_add_u32 s0, s28, s18
	s_addc_u32 s1, s29, s19
	s_add_u32 s0, s0, s30
	s_addc_u32 s1, s1, s31
	;; [unrolled: 2-line block ×3, first 2 shown]
	s_add_u32 s36, s0, -8
	s_addc_u32 s37, s1, -1
	s_lshl_b64 s[0:1], s[8:9], 4
	s_add_u32 s20, s0, -16
	v_lshlrev_b32_e32 v1, 3, v0
	v_or_b32_e32 v2, 0x200, v0
	s_addc_u32 s23, s1, -1
	s_mov_b32 s33, 0
	s_mov_b64 s[38:39], 0
	s_xor_b64 s[40:41], s[24:25], -1
	v_mov_b32_e32 v5, 0
	s_branch .LBB2_114
.LBB2_113:                              ;   in Loop: Header=BB2_114 Depth=1
	s_or_b64 exec, exec, s[42:43]
	s_add_u32 s34, s34, s14
	s_addc_u32 s35, s35, s15
	s_add_u32 s38, s38, 0xfffffe00
	s_addc_u32 s39, s39, -1
	s_add_u32 s36, s36, s14
	v_add_u32_e32 v2, 0x200, v2
	s_addc_u32 s37, s37, s15
	s_and_b64 vcc, exec, s[2:3]
	s_mov_b32 s33, s60
	s_barrier
	s_cbranch_vccnz .LBB2_146
.LBB2_114:                              ; =>This Loop Header: Depth=1
                                        ;     Child Loop BB2_118 Depth 2
                                        ;     Child Loop BB2_128 Depth 2
                                        ;       Child Loop BB2_131 Depth 3
	v_add_u32_e32 v10, s33, v0
	v_cmp_le_i32_e32 vcc, s21, v10
	v_cmp_gt_i32_e64 s[0:1], s21, v10
	s_and_saveexec_b64 s[2:3], s[0:1]
	s_cbranch_execz .LBB2_116
; %bb.115:                              ;   in Loop: Header=BB2_114 Depth=1
	v_mad_u64_u32 v[6:7], s[42:43], s16, v10, 0
	v_mov_b32_e32 v4, v7
	v_mad_u64_u32 v[8:9], s[42:43], s17, v10, v[4:5]
	v_mov_b32_e32 v7, v8
	v_lshl_add_u64 v[6:7], v[6:7], 3, s[10:11]
	global_load_dwordx2 v[6:7], v[6:7], off
	s_waitcnt vmcnt(0)
	ds_write_b64 v1, v[6:7]
.LBB2_116:                              ;   in Loop: Header=BB2_114 Depth=1
	s_or_b64 exec, exec, s[2:3]
	v_subrev_u32_e32 v3, s22, v10
	s_mov_b32 s46, 0
	s_xor_b64 s[42:43], vcc, -1
	s_mov_b64 s[44:45], s[34:35]
	v_mov_b32_e32 v4, v0
	s_mov_b32 s47, 0
	s_waitcnt lgkmcnt(0)
	s_barrier
	s_branch .LBB2_118
.LBB2_117:                              ;   in Loop: Header=BB2_118 Depth=2
	s_or_b64 exec, exec, s[2:3]
	s_add_i32 s47, s47, 1
	s_add_i32 s46, s46, 8
	s_add_u32 s44, s44, s18
	s_addc_u32 s45, s45, s19
	s_cmpk_eq_i32 s47, 0x200
	v_add_u32_e32 v4, -1, v4
	s_cselect_b64 s[2:3], -1, 0
	s_and_b64 vcc, exec, s[2:3]
	s_cbranch_vccnz .LBB2_124
.LBB2_118:                              ;   Parent Loop BB2_114 Depth=1
                                        ; =>  This Inner Loop Header: Depth=2
	s_add_i32 s48, s33, s47
	s_cmp_ge_i32 s48, s21
	s_cbranch_scc1 .LBB2_123
; %bb.119:                              ;   in Loop: Header=BB2_118 Depth=2
	v_cmp_eq_u32_e32 vcc, s47, v0
	s_and_b64 s[50:51], s[40:41], vcc
	s_and_saveexec_b64 s[2:3], s[50:51]
	s_cbranch_execz .LBB2_121
; %bb.120:                              ;   in Loop: Header=BB2_118 Depth=2
	global_load_dwordx2 v[6:7], v5, s[44:45]
	ds_read_b64 v[8:9], v1
	s_waitcnt vmcnt(0) lgkmcnt(0)
	v_div_scale_f64 v[12:13], s[50:51], v[6:7], v[6:7], v[8:9]
	v_rcp_f64_e32 v[14:15], v[12:13]
	v_div_scale_f64 v[16:17], vcc, v[8:9], v[6:7], v[8:9]
	v_fma_f64 v[18:19], -v[12:13], v[14:15], 1.0
	v_fmac_f64_e32 v[14:15], v[14:15], v[18:19]
	v_fma_f64 v[18:19], -v[12:13], v[14:15], 1.0
	v_fmac_f64_e32 v[14:15], v[14:15], v[18:19]
	v_mul_f64 v[18:19], v[16:17], v[14:15]
	v_fma_f64 v[12:13], -v[12:13], v[18:19], v[16:17]
	v_div_fmas_f64 v[12:13], v[12:13], v[14:15], v[18:19]
	v_div_fixup_f64 v[6:7], v[12:13], v[6:7], v[8:9]
	ds_write_b64 v1, v[6:7]
.LBB2_121:                              ;   in Loop: Header=BB2_118 Depth=2
	s_or_b64 exec, exec, s[2:3]
	v_cmp_lt_u32_e32 vcc, s47, v0
	v_cmp_ge_i32_e64 s[2:3], s48, v3
	s_and_b64 s[48:49], s[42:43], vcc
	s_and_b64 s[48:49], s[48:49], s[2:3]
	s_waitcnt lgkmcnt(0)
	s_barrier
	s_and_saveexec_b64 s[2:3], s[48:49]
	s_cbranch_execz .LBB2_117
; %bb.122:                              ;   in Loop: Header=BB2_118 Depth=2
	v_lshl_add_u64 v[6:7], v[4:5], 3, s[44:45]
	global_load_dwordx2 v[6:7], v[6:7], off
	v_mov_b32_e32 v8, s46
	ds_read_b64 v[8:9], v8
	ds_read_b64 v[12:13], v1
	s_waitcnt vmcnt(0) lgkmcnt(0)
	v_fma_f64 v[6:7], -v[6:7], v[8:9], v[12:13]
	ds_write_b64 v1, v[6:7]
	s_branch .LBB2_117
.LBB2_123:                              ;   in Loop: Header=BB2_118 Depth=2
                                        ; implicit-def: $sgpr47
                                        ; implicit-def: $sgpr46
                                        ; implicit-def: $sgpr44_sgpr45
	s_cbranch_execz .LBB2_118
.LBB2_124:                              ;   in Loop: Header=BB2_114 Depth=1
	s_add_i32 s60, s33, 0x200
	s_cmp_ge_i32 s60, s21
	s_cselect_b64 s[2:3], -1, 0
	s_and_b64 vcc, exec, s[2:3]
	s_waitcnt lgkmcnt(0)
	s_barrier
	s_cbranch_vccnz .LBB2_144
; %bb.125:                              ;   in Loop: Header=BB2_114 Depth=1
	v_ashrrev_i32_e32 v3, 31, v2
	v_lshl_add_u64 v[6:7], s[38:39], 0, v[2:3]
	v_lshlrev_b64 v[6:7], 3, v[6:7]
	s_mov_b64 s[42:43], 0
	s_mov_b64 s[44:45], s[34:35]
	;; [unrolled: 1-line block ×3, first 2 shown]
	v_mov_b32_e32 v3, v0
	s_mov_b32 s61, s60
                                        ; implicit-def: $sgpr48_sgpr49
	s_branch .LBB2_128
.LBB2_126:                              ;   in Loop: Header=BB2_128 Depth=2
	v_mad_u64_u32 v[12:13], s[52:53], s16, v4, 0
	v_mov_b32_e32 v14, v13
	v_mad_u64_u32 v[14:15], s[52:53], s17, v4, v[14:15]
	v_mov_b32_e32 v13, v14
	v_lshl_add_u64 v[12:13], v[12:13], 3, s[10:11]
	global_load_dwordx2 v[14:15], v[12:13], off
	s_addk_i32 s61, 0x200
	s_add_u32 s46, s46, 0x1000
	s_addc_u32 s47, s47, 0
	s_add_u32 s44, s44, 0x1000
	s_addc_u32 s45, s45, 0
	s_cmp_ge_i32 s61, s21
	s_cselect_b64 s[52:53], -1, 0
	s_andn2_b64 s[48:49], s[48:49], exec
	s_and_b64 s[52:53], s[52:53], exec
	s_or_b64 s[48:49], s[48:49], s[52:53]
	s_waitcnt vmcnt(0)
	v_add_f64 v[8:9], v[14:15], -v[8:9]
	global_store_dwordx2 v[12:13], v[8:9], off
.LBB2_127:                              ;   in Loop: Header=BB2_128 Depth=2
	s_or_b64 exec, exec, s[50:51]
	s_and_b64 s[50:51], exec, s[48:49]
	s_or_b64 s[42:43], s[50:51], s[42:43]
	s_andn2_b64 exec, exec, s[42:43]
	s_cbranch_execz .LBB2_143
.LBB2_128:                              ;   Parent Loop BB2_114 Depth=1
                                        ; =>  This Loop Header: Depth=2
                                        ;       Child Loop BB2_131 Depth 3
	v_add_u32_e32 v4, s61, v0
	v_cmp_gt_i32_e32 vcc, s21, v4
	s_or_b64 s[48:49], s[48:49], exec
	s_and_saveexec_b64 s[50:51], vcc
	s_cbranch_execz .LBB2_127
; %bb.129:                              ;   in Loop: Header=BB2_128 Depth=2
	v_subrev_u32_e32 v11, s22, v4
	v_add_u32_e32 v12, 0x1ff, v3
	v_add_u32_e32 v3, 0x200, v3
	v_mov_b64_e32 v[8:9], 0
	s_mov_b32 s62, 0
	s_mov_b64 s[52:53], s[44:45]
	s_mov_b64 s[54:55], s[46:47]
	s_mov_b32 s63, 0
	s_branch .LBB2_131
.LBB2_130:                              ;   in Loop: Header=BB2_131 Depth=3
	s_or_b64 exec, exec, s[56:57]
	s_add_i32 s63, s63, 2
	s_add_u32 s54, s54, s20
	s_addc_u32 s55, s55, s23
	s_add_i32 s62, s62, 16
	s_add_u32 s52, s52, s20
	s_addc_u32 s53, s53, s23
	s_cmpk_eq_i32 s63, 0x200
	s_cbranch_scc1 .LBB2_126
.LBB2_131:                              ;   Parent Loop BB2_114 Depth=1
                                        ;     Parent Loop BB2_128 Depth=2
                                        ; =>    This Inner Loop Header: Depth=3
	v_cmp_ne_u32_e32 vcc, s63, v3
	s_add_i32 s64, s33, s63
	s_or_b64 s[56:57], s[40:41], vcc
	s_and_saveexec_b64 s[58:59], s[56:57]
	s_xor_b64 s[56:57], exec, s[58:59]
	s_cbranch_execz .LBB2_135
; %bb.132:                              ;   in Loop: Header=BB2_131 Depth=3
	s_cmp_lt_i32 s64, s21
	s_cselect_b64 s[58:59], -1, 0
	v_cmp_ge_i32_e32 vcc, s64, v11
	s_and_b64 s[66:67], s[58:59], vcc
	s_and_saveexec_b64 s[58:59], s[66:67]
	s_cbranch_execz .LBB2_134
; %bb.133:                              ;   in Loop: Header=BB2_131 Depth=3
	v_lshl_add_u64 v[14:15], s[52:53], 0, v[6:7]
	global_load_dwordx2 v[14:15], v[14:15], off
	v_mov_b32_e32 v13, s62
	ds_read_b64 v[16:17], v13
	s_waitcnt vmcnt(0) lgkmcnt(0)
	v_fmac_f64_e32 v[8:9], v[14:15], v[16:17]
.LBB2_134:                              ;   in Loop: Header=BB2_131 Depth=3
	s_or_b64 exec, exec, s[58:59]
.LBB2_135:                              ;   in Loop: Header=BB2_131 Depth=3
	s_andn2_saveexec_b64 s[56:57], s[56:57]
	s_cbranch_execz .LBB2_137
; %bb.136:                              ;   in Loop: Header=BB2_131 Depth=3
	v_mov_b32_e32 v13, s62
	ds_read_b64 v[14:15], v13
	s_waitcnt lgkmcnt(0)
	v_add_f64 v[8:9], v[8:9], v[14:15]
.LBB2_137:                              ;   in Loop: Header=BB2_131 Depth=3
	s_or_b64 exec, exec, s[56:57]
	v_cmp_ne_u32_e32 vcc, s63, v12
	s_or_b64 s[56:57], s[40:41], vcc
	s_and_saveexec_b64 s[58:59], s[56:57]
	s_xor_b64 s[56:57], exec, s[58:59]
	s_cbranch_execz .LBB2_141
; %bb.138:                              ;   in Loop: Header=BB2_131 Depth=3
	s_add_i32 s64, s64, 1
	s_cmp_lt_i32 s64, s21
	s_cselect_b64 s[58:59], -1, 0
	v_cmp_ge_i32_e32 vcc, s64, v11
	s_and_b64 s[64:65], s[58:59], vcc
	s_and_saveexec_b64 s[58:59], s[64:65]
	s_cbranch_execz .LBB2_140
; %bb.139:                              ;   in Loop: Header=BB2_131 Depth=3
	v_lshl_add_u64 v[14:15], s[54:55], 0, v[6:7]
	global_load_dwordx2 v[14:15], v[14:15], off
	v_mov_b32_e32 v13, s62
	ds_read_b64 v[16:17], v13 offset:8
	s_waitcnt vmcnt(0) lgkmcnt(0)
	v_fmac_f64_e32 v[8:9], v[14:15], v[16:17]
.LBB2_140:                              ;   in Loop: Header=BB2_131 Depth=3
	s_or_b64 exec, exec, s[58:59]
.LBB2_141:                              ;   in Loop: Header=BB2_131 Depth=3
	s_andn2_saveexec_b64 s[56:57], s[56:57]
	s_cbranch_execz .LBB2_130
; %bb.142:                              ;   in Loop: Header=BB2_131 Depth=3
	v_mov_b32_e32 v13, s62
	ds_read_b64 v[14:15], v13 offset:8
	s_waitcnt lgkmcnt(0)
	v_add_f64 v[8:9], v[8:9], v[14:15]
	s_branch .LBB2_130
.LBB2_143:                              ;   in Loop: Header=BB2_114 Depth=1
	s_or_b64 exec, exec, s[42:43]
.LBB2_144:                              ;   in Loop: Header=BB2_114 Depth=1
	s_and_saveexec_b64 s[42:43], s[0:1]
	s_cbranch_execz .LBB2_113
; %bb.145:                              ;   in Loop: Header=BB2_114 Depth=1
	ds_read_b64 v[6:7], v1
	v_mad_u64_u32 v[8:9], s[0:1], s16, v10, 0
	v_mov_b32_e32 v4, v9
	v_mad_u64_u32 v[10:11], s[0:1], s17, v10, v[4:5]
	v_mov_b32_e32 v9, v10
	v_lshl_add_u64 v[8:9], v[8:9], 3, s[10:11]
	s_waitcnt lgkmcnt(0)
	global_store_dwordx2 v[8:9], v[6:7], off
	s_branch .LBB2_113
.LBB2_146:
	s_mov_b64 s[0:1], 0
.LBB2_147:
	s_andn2_b64 vcc, exec, s[0:1]
	s_cbranch_vccnz .LBB2_183
; %bb.148:
	s_andn2_b64 vcc, exec, s[12:13]
	s_cbranch_vccnz .LBB2_183
; %bb.149:
	s_add_i32 s34, s21, 0xfffffe00
	s_add_i32 s12, s21, -1
	s_add_u32 s2, s28, s30
	s_addc_u32 s3, s29, s31
	s_ashr_i32 s23, s22, 31
	s_lshl_b64 s[0:1], s[22:23], 3
	s_add_u32 s2, s2, s0
	s_addc_u32 s3, s3, s1
	s_ashr_i32 s13, s12, 31
	s_lshl_b64 s[0:1], s[12:13], 3
	s_sub_u32 s0, s2, s0
	s_subb_u32 s1, s3, s1
	s_add_u32 s14, s4, s0
	s_addc_u32 s15, s5, s1
	s_lshl_b64 s[18:19], s[8:9], 3
	s_add_u32 s13, s18, 8
	s_addc_u32 s20, s19, 0
	s_add_u32 s0, s6, s26
	s_addc_u32 s1, s7, s27
	;; [unrolled: 2-line block ×3, first 2 shown]
	s_ashr_i32 s3, s21, 31
	s_mov_b32 s2, s21
	s_lshl_b64 s[0:1], s[0:1], 3
	s_lshl_b64 s[2:3], s[2:3], 3
	s_sub_u32 s0, s0, s2
	s_subb_u32 s1, s1, s3
	s_add_u32 s0, s4, s0
	s_addc_u32 s1, s5, s1
	s_add_u32 s4, s0, 0xff8
	s_addc_u32 s5, s1, 0
	s_add_i32 s23, s21, 0xfffffe01
	s_add_u32 s33, s0, 0x1000
	s_addc_u32 s40, s1, 0
	s_lshl_b64 s[0:1], s[8:9], 4
	v_mov_b32_e32 v1, 0x2000
	v_add_u32_e32 v3, s21, v0
	s_add_u32 s41, s0, -16
	v_lshl_or_b32 v1, v0, 3, v1
	v_add_u32_e32 v2, 0xfffffe00, v3
	v_add_u32_e32 v10, 0xfffffc00, v3
	s_addc_u32 s42, s1, -1
	v_mov_b32_e32 v5, 0
	s_xor_b64 s[6:7], s[24:25], -1
	s_branch .LBB2_151
.LBB2_150:                              ;   in Loop: Header=BB2_151 Depth=1
	s_or_b64 exec, exec, s[8:9]
	s_addk_i32 s12, 0xfe00
	s_add_u32 s14, s14, 0x1000
	s_addc_u32 s15, s15, 0
	s_addk_i32 s21, 0xfe00
	s_add_u32 s4, s4, 0x1000
	s_addc_u32 s5, s5, 0
	s_addk_i32 s23, 0xfe00
	s_add_u32 s33, s33, 0x1000
	v_add_u32_e32 v2, 0xfffffe00, v2
	v_add_u32_e32 v10, 0xfffffe00, v10
	s_addc_u32 s40, s40, 0
	s_and_b64 vcc, exec, s[2:3]
	s_mov_b32 s34, s43
	s_barrier
	s_cbranch_vccnz .LBB2_183
.LBB2_151:                              ; =>This Loop Header: Depth=1
                                        ;     Child Loop BB2_156 Depth 2
                                        ;     Child Loop BB2_165 Depth 2
                                        ;       Child Loop BB2_168 Depth 3
	v_add_u32_e32 v11, s34, v0
	v_cmp_gt_i32_e32 vcc, 0, v11
	v_cmp_lt_i32_e64 s[0:1], -1, v11
	s_and_saveexec_b64 s[2:3], s[0:1]
	s_cbranch_execz .LBB2_153
; %bb.152:                              ;   in Loop: Header=BB2_151 Depth=1
	v_mad_u64_u32 v[6:7], s[8:9], s16, v11, 0
	v_mov_b32_e32 v4, v7
	v_mad_u64_u32 v[8:9], s[8:9], s17, v11, v[4:5]
	v_mov_b32_e32 v7, v8
	v_lshl_add_u64 v[6:7], v[6:7], 3, s[10:11]
	global_load_dwordx2 v[6:7], v[6:7], off
	s_waitcnt vmcnt(0)
	ds_write_b64 v1, v[6:7]
.LBB2_153:                              ;   in Loop: Header=BB2_151 Depth=1
	s_or_b64 exec, exec, s[2:3]
	v_mov_b32_e32 v3, v5
	v_mov_b64_e32 v[6:7], s[14:15]
	v_lshl_add_u64 v[8:9], v[2:3], 3, s[14:15]
	v_add_u32_e32 v3, s22, v11
	s_movk_i32 s24, 0x1ff
	s_movk_i32 s25, 0x2ff8
	s_xor_b64 s[8:9], vcc, -1
	s_mov_b32 s26, s12
	s_waitcnt lgkmcnt(0)
	s_barrier
	s_branch .LBB2_156
.LBB2_154:                              ;   in Loop: Header=BB2_156 Depth=2
	s_or_b64 exec, exec, s[2:3]
	s_add_i32 s24, s24, -1
	s_add_i32 s25, s25, -8
	;; [unrolled: 1-line block ×3, first 2 shown]
	s_cmp_eq_u32 s24, -1
	v_lshl_add_u64 v[8:9], v[8:9], 0, 8
	v_lshl_add_u64 v[6:7], v[6:7], 0, 8
	s_cselect_b64 s[2:3], -1, 0
.LBB2_155:                              ;   in Loop: Header=BB2_156 Depth=2
	s_and_b64 vcc, exec, s[2:3]
	s_cbranch_vccnz .LBB2_161
.LBB2_156:                              ;   Parent Loop BB2_151 Depth=1
                                        ; =>  This Inner Loop Header: Depth=2
	s_add_i32 s27, s12, s24
	s_addk_i32 s27, 0xfe01
	s_cmp_lt_i32 s27, 0
	s_mov_b64 s[2:3], -1
	s_cbranch_scc1 .LBB2_155
; %bb.157:                              ;   in Loop: Header=BB2_156 Depth=2
	v_cmp_eq_u32_e32 vcc, s24, v0
	s_and_b64 s[28:29], s[6:7], vcc
	s_and_saveexec_b64 s[2:3], s[28:29]
	s_cbranch_execz .LBB2_159
; %bb.158:                              ;   in Loop: Header=BB2_156 Depth=2
	s_mul_i32 s28, s20, s26
	s_mul_hi_u32 s29, s13, s26
	s_add_i32 s29, s29, s28
	s_mul_i32 s28, s13, s26
	v_lshl_add_u64 v[12:13], v[6:7], 0, s[28:29]
	global_load_dwordx2 v[12:13], v[12:13], off
	ds_read_b64 v[14:15], v1
	s_waitcnt vmcnt(0) lgkmcnt(0)
	v_div_scale_f64 v[16:17], s[28:29], v[12:13], v[12:13], v[14:15]
	v_rcp_f64_e32 v[18:19], v[16:17]
	v_div_scale_f64 v[20:21], vcc, v[14:15], v[12:13], v[14:15]
	v_fma_f64 v[22:23], -v[16:17], v[18:19], 1.0
	v_fmac_f64_e32 v[18:19], v[18:19], v[22:23]
	v_fma_f64 v[22:23], -v[16:17], v[18:19], 1.0
	v_fmac_f64_e32 v[18:19], v[18:19], v[22:23]
	v_mul_f64 v[22:23], v[20:21], v[18:19]
	v_fma_f64 v[16:17], -v[16:17], v[22:23], v[20:21]
	v_div_fmas_f64 v[16:17], v[16:17], v[18:19], v[22:23]
	v_div_fixup_f64 v[12:13], v[16:17], v[12:13], v[14:15]
	ds_write_b64 v1, v[12:13]
.LBB2_159:                              ;   in Loop: Header=BB2_156 Depth=2
	s_or_b64 exec, exec, s[2:3]
	v_cmp_gt_u32_e32 vcc, s24, v0
	v_cmp_le_i32_e64 s[2:3], s27, v3
	s_and_b64 s[28:29], s[8:9], vcc
	s_and_b64 s[28:29], s[28:29], s[2:3]
	s_waitcnt lgkmcnt(0)
	s_barrier
	s_and_saveexec_b64 s[2:3], s[28:29]
	s_cbranch_execz .LBB2_154
; %bb.160:                              ;   in Loop: Header=BB2_156 Depth=2
	v_mov_b32_e32 v4, s26
	v_mad_u64_u32 v[12:13], s[28:29], s18, v4, v[8:9]
	s_mul_i32 s27, s19, s26
	v_add_u32_e32 v13, s27, v13
	global_load_dwordx2 v[12:13], v[12:13], off
	v_mov_b32_e32 v4, s25
	ds_read_b64 v[14:15], v4
	ds_read_b64 v[16:17], v1
	s_waitcnt vmcnt(0) lgkmcnt(0)
	v_fma_f64 v[12:13], -v[12:13], v[14:15], v[16:17]
	ds_write_b64 v1, v[12:13]
	s_branch .LBB2_154
.LBB2_161:                              ;   in Loop: Header=BB2_151 Depth=1
	s_add_i32 s43, s34, 0xfffffe00
	s_cmp_lt_i32 s34, 1
	s_cselect_b64 s[2:3], -1, 0
	s_and_b64 vcc, exec, s[2:3]
	s_waitcnt lgkmcnt(0)
	s_barrier
	s_cbranch_vccnz .LBB2_181
; %bb.162:                              ;   in Loop: Header=BB2_151 Depth=1
	s_mul_i32 s8, s19, s34
	s_mul_hi_u32 s9, s18, s34
	s_add_i32 s9, s9, s8
	s_mul_i32 s8, s18, s34
	s_add_u32 s8, s33, s8
	s_addc_u32 s9, s40, s9
	s_mov_b64 s[24:25], 0
	v_mov_b32_e32 v4, v10
	v_mov_b32_e32 v3, v0
	s_mov_b32 s44, s43
                                        ; implicit-def: $sgpr26_sgpr27
	s_branch .LBB2_165
.LBB2_163:                              ;   in Loop: Header=BB2_165 Depth=2
	v_mad_u64_u32 v[8:9], s[30:31], s16, v12, 0
	v_mov_b32_e32 v14, v9
	v_mad_u64_u32 v[12:13], s[30:31], s17, v12, v[14:15]
	v_mov_b32_e32 v9, v12
	v_lshl_add_u64 v[8:9], v[8:9], 3, s[10:11]
	global_load_dwordx2 v[12:13], v[8:9], off
	s_add_i32 s34, s44, 0xfffffe00
	s_cmp_lt_i32 s44, 1
	s_cselect_b64 s[30:31], -1, 0
	s_andn2_b64 s[26:27], s[26:27], exec
	s_and_b64 s[30:31], s[30:31], exec
	v_add_u32_e32 v4, 0xfffffe00, v4
	s_or_b64 s[26:27], s[26:27], s[30:31]
	s_mov_b32 s44, s34
	s_waitcnt vmcnt(0)
	v_add_f64 v[6:7], v[12:13], -v[6:7]
	global_store_dwordx2 v[8:9], v[6:7], off
.LBB2_164:                              ;   in Loop: Header=BB2_165 Depth=2
	s_or_b64 exec, exec, s[28:29]
	s_and_b64 s[28:29], exec, s[26:27]
	s_or_b64 s[24:25], s[28:29], s[24:25]
	s_andn2_b64 exec, exec, s[24:25]
	s_cbranch_execz .LBB2_180
.LBB2_165:                              ;   Parent Loop BB2_151 Depth=1
                                        ; =>  This Loop Header: Depth=2
                                        ;       Child Loop BB2_168 Depth 3
	v_add_u32_e32 v12, s44, v0
	v_cmp_lt_i32_e32 vcc, -1, v12
	s_or_b64 s[26:27], s[26:27], exec
	s_and_saveexec_b64 s[28:29], vcc
	s_cbranch_execz .LBB2_164
; %bb.166:                              ;   in Loop: Header=BB2_165 Depth=2
	v_lshlrev_b64 v[8:9], 3, v[4:5]
	v_add_u32_e32 v13, s22, v12
	v_add_u32_e32 v14, 0xfffffdff, v3
	;; [unrolled: 1-line block ×3, first 2 shown]
	v_mov_b64_e32 v[6:7], 0
	s_mov_b32 s45, 0
	s_movk_i32 s46, 0x2000
	s_mov_b64 s[30:31], s[8:9]
	s_mov_b32 s47, s23
	s_mov_b64 s[34:35], s[4:5]
	s_branch .LBB2_168
.LBB2_167:                              ;   in Loop: Header=BB2_168 Depth=3
	s_or_b64 exec, exec, s[36:37]
	s_add_i32 s45, s45, 2
	s_add_i32 s46, s46, 16
	s_add_u32 s34, s34, -16
	s_addc_u32 s35, s35, -1
	s_add_i32 s47, s47, 2
	s_add_u32 s30, s30, s41
	s_addc_u32 s31, s31, s42
	s_cmpk_eq_i32 s45, 0x200
	s_cbranch_scc1 .LBB2_163
.LBB2_168:                              ;   Parent Loop BB2_151 Depth=1
                                        ;     Parent Loop BB2_165 Depth=2
                                        ; =>    This Inner Loop Header: Depth=3
	v_cmp_ne_u32_e32 vcc, s45, v3
	s_add_i32 s48, s21, s45
	s_or_b64 s[36:37], s[6:7], vcc
	s_and_saveexec_b64 s[38:39], s[36:37]
	s_xor_b64 s[36:37], exec, s[38:39]
	s_cbranch_execz .LBB2_172
; %bb.169:                              ;   in Loop: Header=BB2_168 Depth=3
	s_add_i32 s38, s48, 0xfffffe00
	v_cmp_le_i32_e32 vcc, s38, v13
	s_and_saveexec_b64 s[38:39], vcc
	s_cbranch_execz .LBB2_171
; %bb.170:                              ;   in Loop: Header=BB2_168 Depth=3
	v_lshl_add_u64 v[16:17], s[30:31], 0, v[8:9]
	global_load_dwordx2 v[16:17], v[16:17], off
	v_mov_b32_e32 v15, s46
	ds_read_b64 v[18:19], v15
	s_waitcnt vmcnt(0) lgkmcnt(0)
	v_fmac_f64_e32 v[6:7], v[16:17], v[18:19]
.LBB2_171:                              ;   in Loop: Header=BB2_168 Depth=3
	s_or_b64 exec, exec, s[38:39]
.LBB2_172:                              ;   in Loop: Header=BB2_168 Depth=3
	s_andn2_saveexec_b64 s[36:37], s[36:37]
	s_cbranch_execz .LBB2_174
; %bb.173:                              ;   in Loop: Header=BB2_168 Depth=3
	v_mov_b32_e32 v15, s46
	ds_read_b64 v[16:17], v15
	s_waitcnt lgkmcnt(0)
	v_add_f64 v[6:7], v[6:7], v[16:17]
.LBB2_174:                              ;   in Loop: Header=BB2_168 Depth=3
	s_or_b64 exec, exec, s[36:37]
	v_cmp_ne_u32_e32 vcc, s45, v14
	s_or_b64 s[36:37], s[6:7], vcc
	s_and_saveexec_b64 s[38:39], s[36:37]
	s_xor_b64 s[36:37], exec, s[38:39]
	s_cbranch_execz .LBB2_178
; %bb.175:                              ;   in Loop: Header=BB2_168 Depth=3
	s_addk_i32 s48, 0xfe01
	v_cmp_le_i32_e32 vcc, s48, v13
	s_and_saveexec_b64 s[38:39], vcc
	s_cbranch_execz .LBB2_177
; %bb.176:                              ;   in Loop: Header=BB2_168 Depth=3
	s_mul_i32 s48, s19, s47
	s_mul_hi_u32 s49, s18, s47
	s_add_i32 s49, s49, s48
	s_mul_i32 s48, s18, s47
	s_add_u32 s48, s34, s48
	s_addc_u32 s49, s35, s49
	v_lshl_add_u64 v[16:17], s[48:49], 0, v[8:9]
	global_load_dwordx2 v[16:17], v[16:17], off
	v_mov_b32_e32 v15, s46
	ds_read_b64 v[18:19], v15 offset:8
	s_waitcnt vmcnt(0) lgkmcnt(0)
	v_fmac_f64_e32 v[6:7], v[16:17], v[18:19]
.LBB2_177:                              ;   in Loop: Header=BB2_168 Depth=3
	s_or_b64 exec, exec, s[38:39]
.LBB2_178:                              ;   in Loop: Header=BB2_168 Depth=3
	s_andn2_saveexec_b64 s[36:37], s[36:37]
	s_cbranch_execz .LBB2_167
; %bb.179:                              ;   in Loop: Header=BB2_168 Depth=3
	v_mov_b32_e32 v15, s46
	ds_read_b64 v[16:17], v15 offset:8
	s_waitcnt lgkmcnt(0)
	v_add_f64 v[6:7], v[6:7], v[16:17]
	s_branch .LBB2_167
.LBB2_180:                              ;   in Loop: Header=BB2_151 Depth=1
	s_or_b64 exec, exec, s[24:25]
.LBB2_181:                              ;   in Loop: Header=BB2_151 Depth=1
	s_and_saveexec_b64 s[8:9], s[0:1]
	s_cbranch_execz .LBB2_150
; %bb.182:                              ;   in Loop: Header=BB2_151 Depth=1
	ds_read_b64 v[6:7], v1
	v_mad_u64_u32 v[8:9], s[0:1], s16, v11, 0
	v_mov_b32_e32 v4, v9
	v_mad_u64_u32 v[12:13], s[0:1], s17, v11, v[4:5]
	v_mov_b32_e32 v9, v12
	v_lshl_add_u64 v[8:9], v[8:9], 3, s[10:11]
	s_waitcnt lgkmcnt(0)
	global_store_dwordx2 v[8:9], v[6:7], off
	s_branch .LBB2_150
.LBB2_183:
	s_endpgm
	.section	.rodata,"a",@progbits
	.p2align	6, 0x0
	.amdhsa_kernel _ZL19rocblas_tbsv_kernelILb1ELi512EPKdPdEv18rocblas_operation_bbiiT1_lllT2_lll
		.amdhsa_group_segment_fixed_size 16384
		.amdhsa_private_segment_fixed_size 0
		.amdhsa_kernarg_size 80
		.amdhsa_user_sgpr_count 2
		.amdhsa_user_sgpr_dispatch_ptr 0
		.amdhsa_user_sgpr_queue_ptr 0
		.amdhsa_user_sgpr_kernarg_segment_ptr 1
		.amdhsa_user_sgpr_dispatch_id 0
		.amdhsa_user_sgpr_kernarg_preload_length 0
		.amdhsa_user_sgpr_kernarg_preload_offset 0
		.amdhsa_user_sgpr_private_segment_size 0
		.amdhsa_uses_dynamic_stack 0
		.amdhsa_enable_private_segment 0
		.amdhsa_system_sgpr_workgroup_id_x 1
		.amdhsa_system_sgpr_workgroup_id_y 0
		.amdhsa_system_sgpr_workgroup_id_z 0
		.amdhsa_system_sgpr_workgroup_info 0
		.amdhsa_system_vgpr_workitem_id 0
		.amdhsa_next_free_vgpr 26
		.amdhsa_next_free_sgpr 68
		.amdhsa_accum_offset 28
		.amdhsa_reserve_vcc 1
		.amdhsa_float_round_mode_32 0
		.amdhsa_float_round_mode_16_64 0
		.amdhsa_float_denorm_mode_32 3
		.amdhsa_float_denorm_mode_16_64 3
		.amdhsa_dx10_clamp 1
		.amdhsa_ieee_mode 1
		.amdhsa_fp16_overflow 0
		.amdhsa_tg_split 0
		.amdhsa_exception_fp_ieee_invalid_op 0
		.amdhsa_exception_fp_denorm_src 0
		.amdhsa_exception_fp_ieee_div_zero 0
		.amdhsa_exception_fp_ieee_overflow 0
		.amdhsa_exception_fp_ieee_underflow 0
		.amdhsa_exception_fp_ieee_inexact 0
		.amdhsa_exception_int_div_zero 0
	.end_amdhsa_kernel
	.section	.text._ZL19rocblas_tbsv_kernelILb1ELi512EPKdPdEv18rocblas_operation_bbiiT1_lllT2_lll,"axG",@progbits,_ZL19rocblas_tbsv_kernelILb1ELi512EPKdPdEv18rocblas_operation_bbiiT1_lllT2_lll,comdat
.Lfunc_end2:
	.size	_ZL19rocblas_tbsv_kernelILb1ELi512EPKdPdEv18rocblas_operation_bbiiT1_lllT2_lll, .Lfunc_end2-_ZL19rocblas_tbsv_kernelILb1ELi512EPKdPdEv18rocblas_operation_bbiiT1_lllT2_lll
                                        ; -- End function
	.set _ZL19rocblas_tbsv_kernelILb1ELi512EPKdPdEv18rocblas_operation_bbiiT1_lllT2_lll.num_vgpr, 26
	.set _ZL19rocblas_tbsv_kernelILb1ELi512EPKdPdEv18rocblas_operation_bbiiT1_lllT2_lll.num_agpr, 0
	.set _ZL19rocblas_tbsv_kernelILb1ELi512EPKdPdEv18rocblas_operation_bbiiT1_lllT2_lll.numbered_sgpr, 68
	.set _ZL19rocblas_tbsv_kernelILb1ELi512EPKdPdEv18rocblas_operation_bbiiT1_lllT2_lll.num_named_barrier, 0
	.set _ZL19rocblas_tbsv_kernelILb1ELi512EPKdPdEv18rocblas_operation_bbiiT1_lllT2_lll.private_seg_size, 0
	.set _ZL19rocblas_tbsv_kernelILb1ELi512EPKdPdEv18rocblas_operation_bbiiT1_lllT2_lll.uses_vcc, 1
	.set _ZL19rocblas_tbsv_kernelILb1ELi512EPKdPdEv18rocblas_operation_bbiiT1_lllT2_lll.uses_flat_scratch, 0
	.set _ZL19rocblas_tbsv_kernelILb1ELi512EPKdPdEv18rocblas_operation_bbiiT1_lllT2_lll.has_dyn_sized_stack, 0
	.set _ZL19rocblas_tbsv_kernelILb1ELi512EPKdPdEv18rocblas_operation_bbiiT1_lllT2_lll.has_recursion, 0
	.set _ZL19rocblas_tbsv_kernelILb1ELi512EPKdPdEv18rocblas_operation_bbiiT1_lllT2_lll.has_indirect_call, 0
	.section	.AMDGPU.csdata,"",@progbits
; Kernel info:
; codeLenInByte = 6240
; TotalNumSgprs: 74
; NumVgprs: 26
; NumAgprs: 0
; TotalNumVgprs: 26
; ScratchSize: 0
; MemoryBound: 0
; FloatMode: 240
; IeeeMode: 1
; LDSByteSize: 16384 bytes/workgroup (compile time only)
; SGPRBlocks: 9
; VGPRBlocks: 3
; NumSGPRsForWavesPerEU: 74
; NumVGPRsForWavesPerEU: 26
; AccumOffset: 28
; Occupancy: 8
; WaveLimiterHint : 0
; COMPUTE_PGM_RSRC2:SCRATCH_EN: 0
; COMPUTE_PGM_RSRC2:USER_SGPR: 2
; COMPUTE_PGM_RSRC2:TRAP_HANDLER: 0
; COMPUTE_PGM_RSRC2:TGID_X_EN: 1
; COMPUTE_PGM_RSRC2:TGID_Y_EN: 0
; COMPUTE_PGM_RSRC2:TGID_Z_EN: 0
; COMPUTE_PGM_RSRC2:TIDIG_COMP_CNT: 0
; COMPUTE_PGM_RSRC3_GFX90A:ACCUM_OFFSET: 6
; COMPUTE_PGM_RSRC3_GFX90A:TG_SPLIT: 0
	.section	.text._ZL19rocblas_tbsv_kernelILb0ELi512EPKdPdEv18rocblas_operation_bbiiT1_lllT2_lll,"axG",@progbits,_ZL19rocblas_tbsv_kernelILb0ELi512EPKdPdEv18rocblas_operation_bbiiT1_lllT2_lll,comdat
	.globl	_ZL19rocblas_tbsv_kernelILb0ELi512EPKdPdEv18rocblas_operation_bbiiT1_lllT2_lll ; -- Begin function _ZL19rocblas_tbsv_kernelILb0ELi512EPKdPdEv18rocblas_operation_bbiiT1_lllT2_lll
	.p2align	8
	.type	_ZL19rocblas_tbsv_kernelILb0ELi512EPKdPdEv18rocblas_operation_bbiiT1_lllT2_lll,@function
_ZL19rocblas_tbsv_kernelILb0ELi512EPKdPdEv18rocblas_operation_bbiiT1_lllT2_lll: ; @_ZL19rocblas_tbsv_kernelILb0ELi512EPKdPdEv18rocblas_operation_bbiiT1_lllT2_lll
; %bb.0:
	s_load_dwordx2 s[38:39], s[0:1], 0x0
	s_load_dwordx4 s[20:23], s[0:1], 0x4
	s_load_dwordx16 s[4:19], s[0:1], 0x10
	s_waitcnt lgkmcnt(0)
	s_bitcmp1_b32 s39, 0
	s_cselect_b64 s[0:1], -1, 0
	s_xor_b64 s[36:37], s[0:1], -1
	s_bitcmp1_b32 s20, 8
	s_mul_i32 s0, s11, s2
	s_mul_hi_u32 s1, s10, s2
	s_cselect_b64 s[24:25], -1, 0
	s_add_i32 s27, s1, s0
	s_mul_i32 s26, s10, s2
	s_lshl_b64 s[28:29], s[26:27], 3
	s_add_u32 s0, s4, s28
	s_addc_u32 s1, s5, s29
	s_lshl_b64 s[30:31], s[6:7], 3
	s_add_u32 s34, s0, s30
	s_addc_u32 s35, s1, s31
	s_mul_i32 s0, s19, s2
	s_mul_hi_u32 s1, s18, s2
	s_add_i32 s1, s1, s0
	s_mul_i32 s0, s18, s2
	s_lshl_b64 s[0:1], s[0:1], 3
	s_add_u32 s2, s12, s0
	s_addc_u32 s3, s13, s1
	s_lshl_b64 s[0:1], s[14:15], 3
	s_add_u32 s10, s2, s0
	s_addc_u32 s11, s3, s1
	s_cmp_gt_i32 s21, 0
	s_cselect_b64 s[12:13], -1, 0
	s_cmpk_lg_i32 s38, 0x6f
	s_mov_b64 s[0:1], -1
	s_cbranch_scc0 .LBB3_109
; %bb.1:
	s_and_b64 vcc, exec, s[36:37]
	s_cbranch_vccz .LBB3_55
; %bb.2:
	s_andn2_b64 vcc, exec, s[12:13]
	s_cbranch_vccnz .LBB3_54
; %bb.3:
	s_add_i32 s33, s21, 0xfffffe00
	s_add_u32 s2, s28, s30
	s_addc_u32 s3, s29, s31
	s_ashr_i32 s1, s21, 31
	s_mov_b32 s0, s21
	s_lshl_b64 s[0:1], s[0:1], 3
	s_add_u32 s0, s2, s0
	s_addc_u32 s1, s3, s1
	s_add_u32 s0, s4, s0
	s_addc_u32 s1, s5, s1
	v_mov_b32_e32 v1, 0x3000
	s_add_u32 s14, s0, 0xfffff000
	v_add_u32_e32 v2, s21, v0
	v_lshl_or_b32 v1, v0, 3, v1
	v_sub_u32_e32 v10, 0, v0
	v_add_u32_e32 v11, 0xfffffe01, v0
	s_addc_u32 s15, s1, -1
	v_add_u32_e32 v12, 0xfffffc00, v2
	s_lshl_b64 s[18:19], s[8:9], 3
	s_xor_b64 s[38:39], s[24:25], -1
	v_mov_b32_e32 v3, 0
	s_mov_b64 s[40:41], 0x1000
	s_mov_b32 s20, s21
	s_branch .LBB3_5
.LBB3_4:                                ;   in Loop: Header=BB3_5 Depth=1
	s_or_b64 exec, exec, s[42:43]
	s_addk_i32 s20, 0xfe00
	s_add_u32 s14, s14, 0xfffff000
	s_addc_u32 s15, s15, -1
	v_add_u32_e32 v12, 0xfffffe00, v12
	s_andn2_b64 vcc, exec, s[2:3]
	s_mov_b32 s33, s23
	s_barrier
	s_cbranch_vccz .LBB3_54
.LBB3_5:                                ; =>This Loop Header: Depth=1
                                        ;     Child Loop BB3_10 Depth 2
                                        ;     Child Loop BB3_24 Depth 2
                                        ;       Child Loop BB3_27 Depth 3
	v_add_u32_e32 v13, s33, v0
	v_cmp_gt_i32_e32 vcc, 0, v13
	v_cmp_lt_i32_e64 s[0:1], -1, v13
	s_and_saveexec_b64 s[2:3], s[0:1]
	s_cbranch_execz .LBB3_7
; %bb.6:                                ;   in Loop: Header=BB3_5 Depth=1
	v_mad_u64_u32 v[4:5], s[42:43], s16, v13, 0
	v_mov_b32_e32 v2, v5
	v_mad_u64_u32 v[6:7], s[42:43], s17, v13, v[2:3]
	v_mov_b32_e32 v5, v6
	v_lshl_add_u64 v[4:5], v[4:5], 3, s[10:11]
	global_load_dwordx2 v[4:5], v[4:5], off
	s_waitcnt vmcnt(0)
	ds_write_b64 v1, v[4:5]
.LBB3_7:                                ;   in Loop: Header=BB3_5 Depth=1
	s_or_b64 exec, exec, s[2:3]
	v_ashrrev_i32_e32 v2, 31, v13
	v_mul_lo_u32 v7, s9, v13
	v_mul_lo_u32 v2, s8, v2
	v_mad_u64_u32 v[4:5], s[2:3], s8, v13, 0
	v_add3_u32 v5, v5, v2, v7
	v_add_u32_e32 v6, s22, v13
	v_lshl_add_u64 v[4:5], v[4:5], 3, s[34:35]
	s_movk_i32 s23, 0x1ff
	s_mov_b32 s44, 0
	s_movk_i32 s45, 0x3ff0
	s_xor_b64 s[42:43], vcc, -1
	s_waitcnt lgkmcnt(0)
	s_barrier
	s_branch .LBB3_10
.LBB3_8:                                ;   in Loop: Header=BB3_10 Depth=2
	s_or_b64 exec, exec, s[2:3]
	s_add_i32 s23, s23, -2
	s_add_i32 s44, s44, -2
	;; [unrolled: 1-line block ×3, first 2 shown]
	s_cmp_eq_u32 s46, 0
	s_cselect_b64 s[2:3], -1, 0
.LBB3_9:                                ;   in Loop: Header=BB3_10 Depth=2
	s_and_b64 vcc, exec, s[2:3]
	s_cbranch_vccnz .LBB3_20
.LBB3_10:                               ;   Parent Loop BB3_5 Depth=1
                                        ; =>  This Inner Loop Header: Depth=2
	s_add_i32 s46, s20, s44
	s_add_i32 s47, s46, -1
	s_cmp_lt_i32 s47, 0
	s_mov_b64 s[2:3], -1
	s_cbranch_scc1 .LBB3_9
; %bb.11:                               ;   in Loop: Header=BB3_10 Depth=2
	v_cmp_eq_u32_e32 vcc, s44, v11
	s_and_b64 s[48:49], s[38:39], vcc
	s_and_saveexec_b64 s[2:3], s[48:49]
	s_cbranch_execz .LBB3_13
; %bb.12:                               ;   in Loop: Header=BB3_10 Depth=2
	s_mul_i32 s48, s9, s47
	s_mul_hi_u32 s49, s8, s47
	s_add_i32 s49, s49, s48
	s_mul_i32 s48, s8, s47
	s_lshl_b64 s[48:49], s[48:49], 3
	s_add_u32 s48, s34, s48
	s_addc_u32 s49, s35, s49
	global_load_dwordx2 v[8:9], v3, s[48:49]
	ds_read_b64 v[14:15], v1
	s_waitcnt vmcnt(0) lgkmcnt(0)
	v_div_scale_f64 v[16:17], s[48:49], v[8:9], v[8:9], v[14:15]
	v_rcp_f64_e32 v[18:19], v[16:17]
	v_div_scale_f64 v[20:21], vcc, v[14:15], v[8:9], v[14:15]
	v_fma_f64 v[22:23], -v[16:17], v[18:19], 1.0
	v_fmac_f64_e32 v[18:19], v[18:19], v[22:23]
	v_fma_f64 v[22:23], -v[16:17], v[18:19], 1.0
	v_fmac_f64_e32 v[18:19], v[18:19], v[22:23]
	v_mul_f64 v[22:23], v[20:21], v[18:19]
	v_fma_f64 v[16:17], -v[16:17], v[22:23], v[20:21]
	v_div_fmas_f64 v[16:17], v[16:17], v[18:19], v[22:23]
	v_div_fixup_f64 v[8:9], v[16:17], v[8:9], v[14:15]
	ds_write_b64 v1, v[8:9]
.LBB3_13:                               ;   in Loop: Header=BB3_10 Depth=2
	s_or_b64 exec, exec, s[2:3]
	v_cmp_gt_u32_e32 vcc, s23, v0
	v_cmp_le_i32_e64 s[2:3], s47, v6
	s_and_b64 s[48:49], s[42:43], vcc
	s_and_b64 s[48:49], s[48:49], s[2:3]
	s_waitcnt lgkmcnt(0)
	s_barrier
	s_and_saveexec_b64 s[2:3], s[48:49]
	s_cbranch_execz .LBB3_15
; %bb.14:                               ;   in Loop: Header=BB3_10 Depth=2
	v_add_u32_e32 v2, s44, v10
	v_add_u32_e32 v2, 0x1ff, v2
	v_lshl_add_u64 v[8:9], v[2:3], 3, v[4:5]
	global_load_dwordx2 v[8:9], v[8:9], off
	v_mov_b32_e32 v2, s45
	ds_read_b64 v[14:15], v2 offset:8
	ds_read_b64 v[16:17], v1
	s_waitcnt vmcnt(0) lgkmcnt(0)
	v_fma_f64 v[8:9], -v[8:9], v[14:15], v[16:17]
	ds_write_b64 v1, v[8:9]
.LBB3_15:                               ;   in Loop: Header=BB3_10 Depth=2
	s_or_b64 exec, exec, s[2:3]
	s_add_i32 s47, s46, -2
	s_cmp_lt_i32 s47, 0
	s_mov_b64 s[2:3], -1
	s_cbranch_scc1 .LBB3_9
; %bb.16:                               ;   in Loop: Header=BB3_10 Depth=2
	s_add_i32 s46, s23, -1
	v_cmp_eq_u32_e32 vcc, s46, v0
	s_and_b64 s[48:49], s[38:39], vcc
	s_and_saveexec_b64 s[2:3], s[48:49]
	s_cbranch_execz .LBB3_18
; %bb.17:                               ;   in Loop: Header=BB3_10 Depth=2
	s_mul_i32 s48, s9, s47
	s_mul_hi_u32 s49, s8, s47
	s_add_i32 s49, s49, s48
	s_mul_i32 s48, s8, s47
	s_lshl_b64 s[48:49], s[48:49], 3
	s_add_u32 s48, s34, s48
	s_addc_u32 s49, s35, s49
	global_load_dwordx2 v[8:9], v3, s[48:49]
	ds_read_b64 v[14:15], v1
	s_waitcnt vmcnt(0) lgkmcnt(0)
	v_div_scale_f64 v[16:17], s[48:49], v[8:9], v[8:9], v[14:15]
	v_rcp_f64_e32 v[18:19], v[16:17]
	v_div_scale_f64 v[20:21], vcc, v[14:15], v[8:9], v[14:15]
	v_fma_f64 v[22:23], -v[16:17], v[18:19], 1.0
	v_fmac_f64_e32 v[18:19], v[18:19], v[22:23]
	v_fma_f64 v[22:23], -v[16:17], v[18:19], 1.0
	v_fmac_f64_e32 v[18:19], v[18:19], v[22:23]
	v_mul_f64 v[22:23], v[20:21], v[18:19]
	v_fma_f64 v[16:17], -v[16:17], v[22:23], v[20:21]
	v_div_fmas_f64 v[16:17], v[16:17], v[18:19], v[22:23]
	v_div_fixup_f64 v[8:9], v[16:17], v[8:9], v[14:15]
	ds_write_b64 v1, v[8:9]
.LBB3_18:                               ;   in Loop: Header=BB3_10 Depth=2
	s_or_b64 exec, exec, s[2:3]
	v_cmp_gt_u32_e32 vcc, s46, v0
	v_cmp_le_i32_e64 s[2:3], s47, v6
	s_and_b64 s[48:49], s[42:43], vcc
	s_and_b64 s[48:49], s[48:49], s[2:3]
	s_waitcnt lgkmcnt(0)
	s_barrier
	s_and_saveexec_b64 s[2:3], s[48:49]
	s_cbranch_execz .LBB3_8
; %bb.19:                               ;   in Loop: Header=BB3_10 Depth=2
	v_add_u32_e32 v2, s44, v10
	v_add_u32_e32 v2, 0x1fe, v2
	v_lshl_add_u64 v[8:9], v[2:3], 3, v[4:5]
	global_load_dwordx2 v[8:9], v[8:9], off
	v_mov_b32_e32 v2, s45
	ds_read_b64 v[14:15], v2
	ds_read_b64 v[16:17], v1
	s_waitcnt vmcnt(0) lgkmcnt(0)
	v_fma_f64 v[8:9], -v[8:9], v[14:15], v[16:17]
	ds_write_b64 v1, v[8:9]
	s_branch .LBB3_8
.LBB3_20:                               ;   in Loop: Header=BB3_5 Depth=1
	s_add_i32 s23, s33, 0xfffffe00
	s_cmp_lt_i32 s33, 1
	s_cselect_b64 s[2:3], -1, 0
	s_and_b64 vcc, exec, s[2:3]
	s_waitcnt lgkmcnt(0)
	s_barrier
	s_cbranch_vccnz .LBB3_52
; %bb.21:                               ;   in Loop: Header=BB3_5 Depth=1
	v_mad_i64_i32 v[4:5], s[42:43], v12, -8, s[14:15]
	s_mov_b64 s[42:43], 0
	v_mov_b32_e32 v2, v12
	v_mov_b32_e32 v14, v0
	s_mov_b32 s33, s23
                                        ; implicit-def: $sgpr44_sgpr45
	s_branch .LBB3_24
.LBB3_22:                               ;   in Loop: Header=BB3_24 Depth=2
	v_mad_u64_u32 v[8:9], s[48:49], s16, v15, 0
	v_mov_b32_e32 v16, v9
	v_mad_u64_u32 v[16:17], s[48:49], s17, v15, v[16:17]
	v_mov_b32_e32 v9, v16
	v_lshl_add_u64 v[8:9], v[8:9], 3, s[10:11]
	global_load_dwordx2 v[16:17], v[8:9], off
	s_add_i32 s50, s33, 0xfffffe00
	s_cmp_lt_i32 s33, 1
	s_cselect_b64 s[48:49], -1, 0
	s_andn2_b64 s[44:45], s[44:45], exec
	s_and_b64 s[48:49], s[48:49], exec
	v_lshl_add_u64 v[4:5], v[4:5], 0, s[40:41]
	v_add_u32_e32 v2, 0xfffffe00, v2
	s_or_b64 s[44:45], s[44:45], s[48:49]
	s_mov_b32 s33, s50
	s_waitcnt vmcnt(0)
	v_add_f64 v[6:7], v[16:17], -v[6:7]
	global_store_dwordx2 v[8:9], v[6:7], off
.LBB3_23:                               ;   in Loop: Header=BB3_24 Depth=2
	s_or_b64 exec, exec, s[46:47]
	s_and_b64 s[46:47], exec, s[44:45]
	s_or_b64 s[42:43], s[46:47], s[42:43]
	s_andn2_b64 exec, exec, s[42:43]
	s_cbranch_execz .LBB3_51
.LBB3_24:                               ;   Parent Loop BB3_5 Depth=1
                                        ; =>  This Loop Header: Depth=2
                                        ;       Child Loop BB3_27 Depth 3
	v_add_u32_e32 v15, s33, v0
	v_cmp_lt_i32_e32 vcc, -1, v15
	s_or_b64 s[44:45], s[44:45], exec
	s_and_saveexec_b64 s[46:47], vcc
	s_cbranch_execz .LBB3_23
; %bb.25:                               ;   in Loop: Header=BB3_24 Depth=2
	v_mad_u64_u32 v[8:9], s[48:49], s18, v2, v[4:5]
	v_mov_b32_e32 v6, v9
	v_mad_u64_u32 v[6:7], s[48:49], s19, v2, v[6:7]
	v_mov_b32_e32 v9, v6
	v_add_u32_e32 v16, s22, v15
	v_add_u32_e32 v17, 0xfffffdfd, v14
	;; [unrolled: 1-line block ×5, first 2 shown]
	v_mov_b64_e32 v[6:7], 0
	s_mov_b32 s52, 0
	s_movk_i32 s53, 0x3000
	s_branch .LBB3_27
.LBB3_26:                               ;   in Loop: Header=BB3_27 Depth=3
	s_or_b64 exec, exec, s[48:49]
	s_add_i32 s52, s52, 4
	s_add_i32 s53, s53, 32
	s_cmpk_eq_i32 s52, 0x200
	v_lshl_add_u64 v[8:9], v[8:9], 0, 32
	s_cbranch_scc1 .LBB3_22
.LBB3_27:                               ;   Parent Loop BB3_5 Depth=1
                                        ;     Parent Loop BB3_24 Depth=2
                                        ; =>    This Inner Loop Header: Depth=3
	v_cmp_ne_u32_e32 vcc, s52, v14
	s_add_i32 s54, s20, s52
	s_or_b64 s[48:49], s[38:39], vcc
	s_and_saveexec_b64 s[50:51], s[48:49]
	s_xor_b64 s[48:49], exec, s[50:51]
	s_cbranch_execz .LBB3_31
; %bb.28:                               ;   in Loop: Header=BB3_27 Depth=3
	s_add_i32 s50, s54, 0xfffffe00
	v_cmp_le_i32_e32 vcc, s50, v16
	s_and_saveexec_b64 s[50:51], vcc
	s_cbranch_execz .LBB3_30
; %bb.29:                               ;   in Loop: Header=BB3_27 Depth=3
	global_load_dwordx2 v[20:21], v[8:9], off
	v_mov_b32_e32 v22, s53
	ds_read_b64 v[22:23], v22
	s_waitcnt vmcnt(0) lgkmcnt(0)
	v_fmac_f64_e32 v[6:7], v[20:21], v[22:23]
.LBB3_30:                               ;   in Loop: Header=BB3_27 Depth=3
	s_or_b64 exec, exec, s[50:51]
.LBB3_31:                               ;   in Loop: Header=BB3_27 Depth=3
	s_andn2_saveexec_b64 s[48:49], s[48:49]
	s_cbranch_execz .LBB3_33
; %bb.32:                               ;   in Loop: Header=BB3_27 Depth=3
	v_mov_b32_e32 v20, s53
	ds_read_b64 v[20:21], v20
	s_waitcnt lgkmcnt(0)
	v_add_f64 v[6:7], v[6:7], v[20:21]
.LBB3_33:                               ;   in Loop: Header=BB3_27 Depth=3
	s_or_b64 exec, exec, s[48:49]
	v_cmp_ne_u32_e32 vcc, s52, v19
	s_or_b64 s[48:49], s[38:39], vcc
	s_and_saveexec_b64 s[50:51], s[48:49]
	s_xor_b64 s[48:49], exec, s[50:51]
	s_cbranch_execz .LBB3_37
; %bb.34:                               ;   in Loop: Header=BB3_27 Depth=3
	s_add_i32 s50, s54, 0xfffffe01
	v_cmp_le_i32_e32 vcc, s50, v16
	s_and_saveexec_b64 s[50:51], vcc
	s_cbranch_execz .LBB3_36
; %bb.35:                               ;   in Loop: Header=BB3_27 Depth=3
	global_load_dwordx2 v[20:21], v[8:9], off offset:8
	v_mov_b32_e32 v22, s53
	ds_read_b64 v[22:23], v22 offset:8
	s_waitcnt vmcnt(0) lgkmcnt(0)
	v_fmac_f64_e32 v[6:7], v[20:21], v[22:23]
.LBB3_36:                               ;   in Loop: Header=BB3_27 Depth=3
	s_or_b64 exec, exec, s[50:51]
.LBB3_37:                               ;   in Loop: Header=BB3_27 Depth=3
	s_andn2_saveexec_b64 s[48:49], s[48:49]
	s_cbranch_execz .LBB3_39
; %bb.38:                               ;   in Loop: Header=BB3_27 Depth=3
	v_mov_b32_e32 v20, s53
	ds_read_b64 v[20:21], v20 offset:8
	s_waitcnt lgkmcnt(0)
	v_add_f64 v[6:7], v[6:7], v[20:21]
.LBB3_39:                               ;   in Loop: Header=BB3_27 Depth=3
	s_or_b64 exec, exec, s[48:49]
	v_cmp_ne_u32_e32 vcc, s52, v18
	s_or_b64 s[48:49], s[38:39], vcc
	s_and_saveexec_b64 s[50:51], s[48:49]
	s_xor_b64 s[48:49], exec, s[50:51]
	s_cbranch_execz .LBB3_43
; %bb.40:                               ;   in Loop: Header=BB3_27 Depth=3
	s_add_i32 s50, s54, 0xfffffe02
	v_cmp_le_i32_e32 vcc, s50, v16
	s_and_saveexec_b64 s[50:51], vcc
	s_cbranch_execz .LBB3_42
; %bb.41:                               ;   in Loop: Header=BB3_27 Depth=3
	global_load_dwordx2 v[20:21], v[8:9], off offset:16
	v_mov_b32_e32 v22, s53
	ds_read_b64 v[22:23], v22 offset:16
	s_waitcnt vmcnt(0) lgkmcnt(0)
	v_fmac_f64_e32 v[6:7], v[20:21], v[22:23]
.LBB3_42:                               ;   in Loop: Header=BB3_27 Depth=3
	s_or_b64 exec, exec, s[50:51]
.LBB3_43:                               ;   in Loop: Header=BB3_27 Depth=3
	s_andn2_saveexec_b64 s[48:49], s[48:49]
	s_cbranch_execz .LBB3_45
; %bb.44:                               ;   in Loop: Header=BB3_27 Depth=3
	v_mov_b32_e32 v20, s53
	ds_read_b64 v[20:21], v20 offset:16
	s_waitcnt lgkmcnt(0)
	v_add_f64 v[6:7], v[6:7], v[20:21]
.LBB3_45:                               ;   in Loop: Header=BB3_27 Depth=3
	s_or_b64 exec, exec, s[48:49]
	v_cmp_ne_u32_e32 vcc, s52, v17
	s_or_b64 s[48:49], s[38:39], vcc
	s_and_saveexec_b64 s[50:51], s[48:49]
	s_xor_b64 s[48:49], exec, s[50:51]
	s_cbranch_execz .LBB3_49
; %bb.46:                               ;   in Loop: Header=BB3_27 Depth=3
	s_addk_i32 s54, 0xfe03
	v_cmp_le_i32_e32 vcc, s54, v16
	s_and_saveexec_b64 s[50:51], vcc
	s_cbranch_execz .LBB3_48
; %bb.47:                               ;   in Loop: Header=BB3_27 Depth=3
	global_load_dwordx2 v[20:21], v[8:9], off offset:24
	v_mov_b32_e32 v22, s53
	ds_read_b64 v[22:23], v22 offset:24
	s_waitcnt vmcnt(0) lgkmcnt(0)
	v_fmac_f64_e32 v[6:7], v[20:21], v[22:23]
.LBB3_48:                               ;   in Loop: Header=BB3_27 Depth=3
	s_or_b64 exec, exec, s[50:51]
.LBB3_49:                               ;   in Loop: Header=BB3_27 Depth=3
	s_andn2_saveexec_b64 s[48:49], s[48:49]
	s_cbranch_execz .LBB3_26
; %bb.50:                               ;   in Loop: Header=BB3_27 Depth=3
	v_mov_b32_e32 v20, s53
	ds_read_b64 v[20:21], v20 offset:24
	s_waitcnt lgkmcnt(0)
	v_add_f64 v[6:7], v[6:7], v[20:21]
	s_branch .LBB3_26
.LBB3_51:                               ;   in Loop: Header=BB3_5 Depth=1
	s_or_b64 exec, exec, s[42:43]
.LBB3_52:                               ;   in Loop: Header=BB3_5 Depth=1
	s_and_saveexec_b64 s[42:43], s[0:1]
	s_cbranch_execz .LBB3_4
; %bb.53:                               ;   in Loop: Header=BB3_5 Depth=1
	ds_read_b64 v[4:5], v1
	v_mad_u64_u32 v[6:7], s[0:1], s16, v13, 0
	v_mov_b32_e32 v2, v7
	v_mad_u64_u32 v[8:9], s[0:1], s17, v13, v[2:3]
	v_mov_b32_e32 v7, v8
	v_lshl_add_u64 v[6:7], v[6:7], 3, s[10:11]
	s_waitcnt lgkmcnt(0)
	global_store_dwordx2 v[6:7], v[4:5], off
	s_branch .LBB3_4
.LBB3_54:
	s_mov_b64 s[0:1], 0
.LBB3_55:
	s_andn2_b64 vcc, exec, s[0:1]
	s_cbranch_vccnz .LBB3_108
; %bb.56:
	s_andn2_b64 vcc, exec, s[12:13]
	s_cbranch_vccnz .LBB3_108
; %bb.57:
	s_ashr_i32 s23, s22, 31
	s_lshl_b64 s[0:1], s[8:9], 3
	s_lshl_b64 s[2:3], s[22:23], 3
	s_add_u32 s20, s28, s2
	s_addc_u32 s23, s29, s3
	s_add_u32 s14, s20, s0
	s_addc_u32 s15, s23, s1
	;; [unrolled: 2-line block ×3, first 2 shown]
	s_lshl_b64 s[18:19], s[8:9], 12
	s_lshl_b64 s[38:39], s[8:9], 4
	s_add_u32 s40, s18, 0x1000
	s_addc_u32 s41, s19, 0
	s_add_u32 s33, s0, -8
	s_addc_u32 s42, s1, -1
	s_add_u32 s2, s4, s2
	s_addc_u32 s3, s5, s3
	s_add_u32 s0, s2, s28
	s_addc_u32 s1, s3, s29
	v_mov_b64_e32 v[2:3], s[0:1]
	v_mad_u64_u32 v[2:3], s[0:1], s33, v0, v[2:3]
	v_mov_b32_e32 v4, v3
	v_mad_u64_u32 v[4:5], s[0:1], s42, v0, v[4:5]
	v_or_b32_e32 v12, 0x200, v0
	v_mov_b32_e32 v3, v4
	v_mad_u64_u32 v[4:5], s[0:1], s8, v12, 0
	s_add_u32 s42, s4, s20
	v_mov_b32_e32 v6, v5
	s_addc_u32 s43, s5, s23
	v_mad_u64_u32 v[6:7], s[0:1], s9, v12, v[6:7]
	s_add_u32 s0, s2, s30
	s_addc_u32 s1, s3, s31
	s_add_u32 s0, s0, s28
	s_addc_u32 s1, s1, s29
	v_mov_b32_e32 v1, 0x1000
	v_mov_b32_e32 v5, v6
	s_add_u32 s44, s18, 0xfffff000
	v_lshl_or_b32 v1, v0, 3, v1
	v_lshl_add_u64 v[4:5], v[4:5], 3, s[0:1]
	s_addc_u32 s45, s19, -1
	s_mov_b32 s20, 0
	v_mov_b32_e32 v13, 0
	s_xor_b64 s[46:47], s[24:25], -1
	s_branch .LBB3_59
.LBB3_58:                               ;   in Loop: Header=BB3_59 Depth=1
	s_or_b64 exec, exec, s[48:49]
	s_add_u32 s14, s14, s18
	s_addc_u32 s15, s15, s19
	s_add_u32 s42, s42, s18
	v_lshl_add_u64 v[2:3], v[2:3], 0, s[18:19]
	s_addc_u32 s43, s43, s19
	v_lshl_add_u64 v[4:5], v[4:5], 0, s[40:41]
	v_add_u32_e32 v12, 0x200, v12
	s_and_b64 vcc, exec, s[2:3]
	s_mov_b32 s20, s23
	s_barrier
	s_cbranch_vccnz .LBB3_108
.LBB3_59:                               ; =>This Loop Header: Depth=1
                                        ;     Child Loop BB3_63 Depth 2
                                        ;     Child Loop BB3_78 Depth 2
                                        ;       Child Loop BB3_81 Depth 3
	v_add_u32_e32 v14, s20, v0
	v_cmp_le_i32_e32 vcc, s21, v14
	v_cmp_gt_i32_e64 s[0:1], s21, v14
	s_and_saveexec_b64 s[2:3], s[0:1]
	s_cbranch_execz .LBB3_61
; %bb.60:                               ;   in Loop: Header=BB3_59 Depth=1
	v_mad_u64_u32 v[6:7], s[48:49], s16, v14, 0
	v_mov_b32_e32 v8, v7
	v_mad_u64_u32 v[8:9], s[48:49], s17, v14, v[8:9]
	v_mov_b32_e32 v7, v8
	v_lshl_add_u64 v[6:7], v[6:7], 3, s[10:11]
	global_load_dwordx2 v[6:7], v[6:7], off
	s_waitcnt vmcnt(0)
	ds_write_b64 v1, v[6:7]
.LBB3_61:                               ;   in Loop: Header=BB3_59 Depth=1
	s_or_b64 exec, exec, s[2:3]
	v_subrev_u32_e32 v8, s22, v14
	s_mov_b32 s33, 0
	s_movk_i32 s23, 0x1000
	s_xor_b64 s[48:49], vcc, -1
	s_mov_b64 s[52:53], s[42:43]
	v_mov_b64_e32 v[6:7], v[2:3]
	s_mov_b64 s[50:51], s[14:15]
	s_waitcnt lgkmcnt(0)
	s_barrier
	s_branch .LBB3_63
.LBB3_62:                               ;   in Loop: Header=BB3_63 Depth=2
                                        ; implicit-def: $sgpr33
                                        ; implicit-def: $sgpr23
                                        ; implicit-def: $sgpr50_sgpr51
                                        ; implicit-def: $vgpr6_vgpr7
                                        ; implicit-def: $sgpr52_sgpr53
	s_cbranch_execnz .LBB3_74
.LBB3_63:                               ;   Parent Loop BB3_59 Depth=1
                                        ; =>  This Inner Loop Header: Depth=2
	s_add_i32 s54, s20, s33
	s_cmp_ge_i32 s54, s21
	s_cbranch_scc1 .LBB3_62
; %bb.64:                               ;   in Loop: Header=BB3_63 Depth=2
	v_cmp_eq_u32_e32 vcc, s33, v0
	s_and_b64 s[56:57], s[46:47], vcc
	s_and_saveexec_b64 s[2:3], s[56:57]
	s_cbranch_execz .LBB3_66
; %bb.65:                               ;   in Loop: Header=BB3_63 Depth=2
	s_add_u32 s56, s52, s30
	s_addc_u32 s57, s53, s31
	global_load_dwordx2 v[10:11], v13, s[56:57]
	ds_read_b64 v[16:17], v1
	s_waitcnt vmcnt(0) lgkmcnt(0)
	v_div_scale_f64 v[18:19], s[56:57], v[10:11], v[10:11], v[16:17]
	v_rcp_f64_e32 v[20:21], v[18:19]
	v_div_scale_f64 v[22:23], vcc, v[16:17], v[10:11], v[16:17]
	v_fma_f64 v[24:25], -v[18:19], v[20:21], 1.0
	v_fmac_f64_e32 v[20:21], v[20:21], v[24:25]
	v_fma_f64 v[24:25], -v[18:19], v[20:21], 1.0
	v_fmac_f64_e32 v[20:21], v[20:21], v[24:25]
	v_mul_f64 v[24:25], v[22:23], v[20:21]
	v_fma_f64 v[18:19], -v[18:19], v[24:25], v[22:23]
	v_div_fmas_f64 v[18:19], v[18:19], v[20:21], v[24:25]
	v_div_fixup_f64 v[10:11], v[18:19], v[10:11], v[16:17]
	ds_write_b64 v1, v[10:11]
.LBB3_66:                               ;   in Loop: Header=BB3_63 Depth=2
	s_or_b64 exec, exec, s[2:3]
	v_cmp_lt_u32_e32 vcc, s33, v0
	v_cmp_ge_i32_e64 s[2:3], s54, v8
	s_and_b64 s[56:57], s[48:49], vcc
	s_and_b64 s[56:57], s[56:57], s[2:3]
	s_waitcnt lgkmcnt(0)
	s_barrier
	s_and_saveexec_b64 s[2:3], s[56:57]
	s_cbranch_execz .LBB3_68
; %bb.67:                               ;   in Loop: Header=BB3_63 Depth=2
	v_lshl_add_u64 v[10:11], v[6:7], 0, s[30:31]
	global_load_dwordx2 v[10:11], v[10:11], off
	v_mov_b32_e32 v9, s23
	ds_read_b64 v[16:17], v9
	ds_read_b64 v[18:19], v1
	s_waitcnt vmcnt(0) lgkmcnt(0)
	v_fma_f64 v[10:11], -v[10:11], v[16:17], v[18:19]
	ds_write_b64 v1, v[10:11]
.LBB3_68:                               ;   in Loop: Header=BB3_63 Depth=2
	s_or_b64 exec, exec, s[2:3]
	s_add_i32 s54, s54, 1
	s_cmp_ge_i32 s54, s21
	s_cbranch_scc1 .LBB3_62
; %bb.69:                               ;   in Loop: Header=BB3_63 Depth=2
	s_add_i32 s33, s33, 1
	v_cmp_eq_u32_e32 vcc, s33, v0
	s_and_b64 s[56:57], s[46:47], vcc
	s_and_saveexec_b64 s[2:3], s[56:57]
	s_cbranch_execz .LBB3_71
; %bb.70:                               ;   in Loop: Header=BB3_63 Depth=2
	s_add_u32 s56, s50, s30
	s_addc_u32 s57, s51, s31
	global_load_dwordx2 v[10:11], v13, s[56:57]
	ds_read_b64 v[16:17], v1
	s_waitcnt vmcnt(0) lgkmcnt(0)
	v_div_scale_f64 v[18:19], s[56:57], v[10:11], v[10:11], v[16:17]
	v_rcp_f64_e32 v[20:21], v[18:19]
	v_div_scale_f64 v[22:23], vcc, v[16:17], v[10:11], v[16:17]
	v_fma_f64 v[24:25], -v[18:19], v[20:21], 1.0
	v_fmac_f64_e32 v[20:21], v[20:21], v[24:25]
	v_fma_f64 v[24:25], -v[18:19], v[20:21], 1.0
	v_fmac_f64_e32 v[20:21], v[20:21], v[24:25]
	v_mul_f64 v[24:25], v[22:23], v[20:21]
	v_fma_f64 v[18:19], -v[18:19], v[24:25], v[22:23]
	v_div_fmas_f64 v[18:19], v[18:19], v[20:21], v[24:25]
	v_div_fixup_f64 v[10:11], v[18:19], v[10:11], v[16:17]
	ds_write_b64 v1, v[10:11]
.LBB3_71:                               ;   in Loop: Header=BB3_63 Depth=2
	s_or_b64 exec, exec, s[2:3]
	v_cmp_lt_u32_e32 vcc, s33, v0
	v_cmp_ge_i32_e64 s[2:3], s54, v8
	s_and_b64 s[54:55], s[48:49], vcc
	s_and_b64 s[54:55], s[54:55], s[2:3]
	s_waitcnt lgkmcnt(0)
	s_barrier
	s_and_saveexec_b64 s[2:3], s[54:55]
	s_cbranch_execz .LBB3_73
; %bb.72:                               ;   in Loop: Header=BB3_63 Depth=2
	v_lshl_add_u64 v[10:11], v[6:7], 0, s[30:31]
	global_load_dwordx2 v[10:11], v[10:11], off offset:8
	v_mov_b32_e32 v9, s23
	ds_read_b64 v[16:17], v9 offset:8
	ds_read_b64 v[18:19], v1
	s_waitcnt vmcnt(0) lgkmcnt(0)
	v_fma_f64 v[10:11], -v[10:11], v[16:17], v[18:19]
	ds_write_b64 v1, v[10:11]
.LBB3_73:                               ;   in Loop: Header=BB3_63 Depth=2
	s_or_b64 exec, exec, s[2:3]
	s_add_i32 s23, s23, 16
	s_add_u32 s50, s50, s38
	s_addc_u32 s51, s51, s39
	s_add_u32 s52, s52, s38
	s_addc_u32 s53, s53, s39
	s_add_i32 s33, s33, 1
	s_cmpk_eq_i32 s33, 0x200
	v_lshl_add_u64 v[6:7], v[6:7], 0, 16
	s_cselect_b64 s[2:3], -1, 0
	s_and_b64 vcc, exec, s[2:3]
	s_cbranch_vccz .LBB3_63
.LBB3_74:                               ;   in Loop: Header=BB3_59 Depth=1
	s_add_i32 s23, s20, 0x200
	s_cmp_ge_i32 s23, s21
	s_cselect_b64 s[2:3], -1, 0
	s_and_b64 vcc, exec, s[2:3]
	s_waitcnt lgkmcnt(0)
	s_barrier
	s_cbranch_vccnz .LBB3_106
; %bb.75:                               ;   in Loop: Header=BB3_59 Depth=1
	v_mad_i64_i32 v[6:7], s[48:49], v12, -8, v[4:5]
	s_mov_b64 s[48:49], 0
	v_mov_b32_e32 v15, v0
	s_mov_b32 s33, s23
                                        ; implicit-def: $sgpr50_sgpr51
	s_branch .LBB3_78
.LBB3_76:                               ;   in Loop: Header=BB3_78 Depth=2
	v_mad_u64_u32 v[10:11], s[54:55], s16, v16, 0
	v_mov_b32_e32 v18, v11
	v_mad_u64_u32 v[16:17], s[54:55], s17, v16, v[18:19]
	v_mov_b32_e32 v11, v16
	v_lshl_add_u64 v[10:11], v[10:11], 3, s[10:11]
	global_load_dwordx2 v[16:17], v[10:11], off
	s_addk_i32 s33, 0x200
	s_cmp_ge_i32 s33, s21
	s_cselect_b64 s[54:55], -1, 0
	s_andn2_b64 s[50:51], s[50:51], exec
	s_and_b64 s[54:55], s[54:55], exec
	v_lshl_add_u64 v[6:7], v[6:7], 0, s[44:45]
	s_or_b64 s[50:51], s[50:51], s[54:55]
	s_waitcnt vmcnt(0)
	v_add_f64 v[8:9], v[16:17], -v[8:9]
	global_store_dwordx2 v[10:11], v[8:9], off
.LBB3_77:                               ;   in Loop: Header=BB3_78 Depth=2
	s_or_b64 exec, exec, s[52:53]
	s_and_b64 s[52:53], exec, s[50:51]
	s_or_b64 s[48:49], s[52:53], s[48:49]
	s_andn2_b64 exec, exec, s[48:49]
	s_cbranch_execz .LBB3_105
.LBB3_78:                               ;   Parent Loop BB3_59 Depth=1
                                        ; =>  This Loop Header: Depth=2
                                        ;       Child Loop BB3_81 Depth 3
	v_add_u32_e32 v16, s33, v0
	v_cmp_gt_i32_e32 vcc, s21, v16
	s_or_b64 s[50:51], s[50:51], exec
	s_and_saveexec_b64 s[52:53], vcc
	s_cbranch_execz .LBB3_77
; %bb.79:                               ;   in Loop: Header=BB3_78 Depth=2
	v_subrev_u32_e32 v17, s22, v16
	v_add_u32_e32 v18, 0x1fd, v15
	v_add_u32_e32 v19, 0x1fe, v15
	;; [unrolled: 1-line block ×4, first 2 shown]
	v_mov_b64_e32 v[8:9], 0
	s_mov_b32 s58, 0
	s_movk_i32 s59, 0x1000
	v_mov_b64_e32 v[10:11], v[6:7]
	s_branch .LBB3_81
.LBB3_80:                               ;   in Loop: Header=BB3_81 Depth=3
	s_or_b64 exec, exec, s[54:55]
	s_add_i32 s58, s58, 4
	s_add_i32 s59, s59, 32
	s_cmpk_eq_i32 s58, 0x200
	v_lshl_add_u64 v[10:11], v[10:11], 0, 32
	s_cbranch_scc1 .LBB3_76
.LBB3_81:                               ;   Parent Loop BB3_59 Depth=1
                                        ;     Parent Loop BB3_78 Depth=2
                                        ; =>    This Inner Loop Header: Depth=3
	v_cmp_ne_u32_e32 vcc, s58, v15
	s_add_i32 s60, s20, s58
	s_or_b64 s[54:55], s[46:47], vcc
	s_and_saveexec_b64 s[56:57], s[54:55]
	s_xor_b64 s[54:55], exec, s[56:57]
	s_cbranch_execz .LBB3_85
; %bb.82:                               ;   in Loop: Header=BB3_81 Depth=3
	s_cmp_lt_i32 s60, s21
	s_cselect_b64 s[56:57], -1, 0
	v_cmp_ge_i32_e32 vcc, s60, v17
	s_and_b64 s[62:63], s[56:57], vcc
	s_and_saveexec_b64 s[56:57], s[62:63]
	s_cbranch_execz .LBB3_84
; %bb.83:                               ;   in Loop: Header=BB3_81 Depth=3
	global_load_dwordx2 v[22:23], v[10:11], off
	v_mov_b32_e32 v21, s59
	ds_read_b64 v[24:25], v21
	s_waitcnt vmcnt(0) lgkmcnt(0)
	v_fmac_f64_e32 v[8:9], v[22:23], v[24:25]
.LBB3_84:                               ;   in Loop: Header=BB3_81 Depth=3
	s_or_b64 exec, exec, s[56:57]
.LBB3_85:                               ;   in Loop: Header=BB3_81 Depth=3
	s_andn2_saveexec_b64 s[54:55], s[54:55]
	s_cbranch_execz .LBB3_87
; %bb.86:                               ;   in Loop: Header=BB3_81 Depth=3
	v_mov_b32_e32 v21, s59
	ds_read_b64 v[22:23], v21
	s_waitcnt lgkmcnt(0)
	v_add_f64 v[8:9], v[8:9], v[22:23]
.LBB3_87:                               ;   in Loop: Header=BB3_81 Depth=3
	s_or_b64 exec, exec, s[54:55]
	v_cmp_ne_u32_e32 vcc, s58, v20
	s_or_b64 s[54:55], s[46:47], vcc
	s_and_saveexec_b64 s[56:57], s[54:55]
	s_xor_b64 s[54:55], exec, s[56:57]
	s_cbranch_execz .LBB3_91
; %bb.88:                               ;   in Loop: Header=BB3_81 Depth=3
	s_add_i32 s61, s60, 1
	s_cmp_lt_i32 s61, s21
	s_cselect_b64 s[56:57], -1, 0
	v_cmp_ge_i32_e32 vcc, s61, v17
	s_and_b64 s[62:63], s[56:57], vcc
	s_and_saveexec_b64 s[56:57], s[62:63]
	s_cbranch_execz .LBB3_90
; %bb.89:                               ;   in Loop: Header=BB3_81 Depth=3
	global_load_dwordx2 v[22:23], v[10:11], off offset:8
	v_mov_b32_e32 v21, s59
	ds_read_b64 v[24:25], v21 offset:8
	s_waitcnt vmcnt(0) lgkmcnt(0)
	v_fmac_f64_e32 v[8:9], v[22:23], v[24:25]
.LBB3_90:                               ;   in Loop: Header=BB3_81 Depth=3
	s_or_b64 exec, exec, s[56:57]
.LBB3_91:                               ;   in Loop: Header=BB3_81 Depth=3
	s_andn2_saveexec_b64 s[54:55], s[54:55]
	s_cbranch_execz .LBB3_93
; %bb.92:                               ;   in Loop: Header=BB3_81 Depth=3
	v_mov_b32_e32 v21, s59
	ds_read_b64 v[22:23], v21 offset:8
	s_waitcnt lgkmcnt(0)
	v_add_f64 v[8:9], v[8:9], v[22:23]
.LBB3_93:                               ;   in Loop: Header=BB3_81 Depth=3
	s_or_b64 exec, exec, s[54:55]
	v_cmp_ne_u32_e32 vcc, s58, v19
	s_or_b64 s[54:55], s[46:47], vcc
	s_and_saveexec_b64 s[56:57], s[54:55]
	s_xor_b64 s[54:55], exec, s[56:57]
	s_cbranch_execz .LBB3_97
; %bb.94:                               ;   in Loop: Header=BB3_81 Depth=3
	s_add_i32 s61, s60, 2
	s_cmp_lt_i32 s61, s21
	s_cselect_b64 s[56:57], -1, 0
	v_cmp_ge_i32_e32 vcc, s61, v17
	s_and_b64 s[62:63], s[56:57], vcc
	s_and_saveexec_b64 s[56:57], s[62:63]
	s_cbranch_execz .LBB3_96
; %bb.95:                               ;   in Loop: Header=BB3_81 Depth=3
	global_load_dwordx2 v[22:23], v[10:11], off offset:16
	v_mov_b32_e32 v21, s59
	ds_read_b64 v[24:25], v21 offset:16
	s_waitcnt vmcnt(0) lgkmcnt(0)
	v_fmac_f64_e32 v[8:9], v[22:23], v[24:25]
.LBB3_96:                               ;   in Loop: Header=BB3_81 Depth=3
	s_or_b64 exec, exec, s[56:57]
.LBB3_97:                               ;   in Loop: Header=BB3_81 Depth=3
	s_andn2_saveexec_b64 s[54:55], s[54:55]
	s_cbranch_execz .LBB3_99
; %bb.98:                               ;   in Loop: Header=BB3_81 Depth=3
	v_mov_b32_e32 v21, s59
	ds_read_b64 v[22:23], v21 offset:16
	s_waitcnt lgkmcnt(0)
	v_add_f64 v[8:9], v[8:9], v[22:23]
.LBB3_99:                               ;   in Loop: Header=BB3_81 Depth=3
	s_or_b64 exec, exec, s[54:55]
	v_cmp_ne_u32_e32 vcc, s58, v18
	s_or_b64 s[54:55], s[46:47], vcc
	s_and_saveexec_b64 s[56:57], s[54:55]
	s_xor_b64 s[54:55], exec, s[56:57]
	s_cbranch_execz .LBB3_103
; %bb.100:                              ;   in Loop: Header=BB3_81 Depth=3
	s_add_i32 s60, s60, 3
	s_cmp_lt_i32 s60, s21
	s_cselect_b64 s[56:57], -1, 0
	v_cmp_ge_i32_e32 vcc, s60, v17
	s_and_b64 s[60:61], s[56:57], vcc
	s_and_saveexec_b64 s[56:57], s[60:61]
	s_cbranch_execz .LBB3_102
; %bb.101:                              ;   in Loop: Header=BB3_81 Depth=3
	global_load_dwordx2 v[22:23], v[10:11], off offset:24
	v_mov_b32_e32 v21, s59
	ds_read_b64 v[24:25], v21 offset:24
	s_waitcnt vmcnt(0) lgkmcnt(0)
	v_fmac_f64_e32 v[8:9], v[22:23], v[24:25]
.LBB3_102:                              ;   in Loop: Header=BB3_81 Depth=3
	s_or_b64 exec, exec, s[56:57]
.LBB3_103:                              ;   in Loop: Header=BB3_81 Depth=3
	s_andn2_saveexec_b64 s[54:55], s[54:55]
	s_cbranch_execz .LBB3_80
; %bb.104:                              ;   in Loop: Header=BB3_81 Depth=3
	v_mov_b32_e32 v21, s59
	ds_read_b64 v[22:23], v21 offset:24
	s_waitcnt lgkmcnt(0)
	v_add_f64 v[8:9], v[8:9], v[22:23]
	s_branch .LBB3_80
.LBB3_105:                              ;   in Loop: Header=BB3_59 Depth=1
	s_or_b64 exec, exec, s[48:49]
.LBB3_106:                              ;   in Loop: Header=BB3_59 Depth=1
	s_and_saveexec_b64 s[48:49], s[0:1]
	s_cbranch_execz .LBB3_58
; %bb.107:                              ;   in Loop: Header=BB3_59 Depth=1
	ds_read_b64 v[6:7], v1
	v_mad_u64_u32 v[8:9], s[0:1], s16, v14, 0
	v_mov_b32_e32 v10, v9
	v_mad_u64_u32 v[10:11], s[0:1], s17, v14, v[10:11]
	v_mov_b32_e32 v9, v10
	v_lshl_add_u64 v[8:9], v[8:9], 3, s[10:11]
	s_waitcnt lgkmcnt(0)
	global_store_dwordx2 v[8:9], v[6:7], off
	s_branch .LBB3_58
.LBB3_108:
	s_mov_b64 s[0:1], 0
.LBB3_109:
	s_andn2_b64 vcc, exec, s[0:1]
	s_cbranch_vccnz .LBB3_183
; %bb.110:
	s_mov_b64 s[0:1], -1
	s_and_b64 vcc, exec, s[36:37]
	s_cbranch_vccz .LBB3_147
; %bb.111:
	s_andn2_b64 vcc, exec, s[12:13]
	s_cbranch_vccnz .LBB3_146
; %bb.112:
	s_lshl_b64 s[14:15], s[8:9], 12
	s_lshl_b64 s[18:19], s[8:9], 3
	s_add_u32 s0, s28, s18
	s_addc_u32 s1, s29, s19
	s_add_u32 s0, s0, s30
	s_addc_u32 s1, s1, s31
	;; [unrolled: 2-line block ×3, first 2 shown]
	s_add_u32 s36, s0, -8
	s_addc_u32 s37, s1, -1
	s_lshl_b64 s[0:1], s[8:9], 4
	s_add_u32 s20, s0, -16
	v_lshlrev_b32_e32 v1, 3, v0
	v_or_b32_e32 v2, 0x200, v0
	s_addc_u32 s23, s1, -1
	s_mov_b32 s33, 0
	s_mov_b64 s[38:39], 0
	s_xor_b64 s[40:41], s[24:25], -1
	v_mov_b32_e32 v5, 0
	s_branch .LBB3_114
.LBB3_113:                              ;   in Loop: Header=BB3_114 Depth=1
	s_or_b64 exec, exec, s[42:43]
	s_add_u32 s34, s34, s14
	s_addc_u32 s35, s35, s15
	s_add_u32 s38, s38, 0xfffffe00
	s_addc_u32 s39, s39, -1
	s_add_u32 s36, s36, s14
	v_add_u32_e32 v2, 0x200, v2
	s_addc_u32 s37, s37, s15
	s_and_b64 vcc, exec, s[2:3]
	s_mov_b32 s33, s60
	s_barrier
	s_cbranch_vccnz .LBB3_146
.LBB3_114:                              ; =>This Loop Header: Depth=1
                                        ;     Child Loop BB3_118 Depth 2
                                        ;     Child Loop BB3_128 Depth 2
                                        ;       Child Loop BB3_131 Depth 3
	v_add_u32_e32 v10, s33, v0
	v_cmp_le_i32_e32 vcc, s21, v10
	v_cmp_gt_i32_e64 s[0:1], s21, v10
	s_and_saveexec_b64 s[2:3], s[0:1]
	s_cbranch_execz .LBB3_116
; %bb.115:                              ;   in Loop: Header=BB3_114 Depth=1
	v_mad_u64_u32 v[6:7], s[42:43], s16, v10, 0
	v_mov_b32_e32 v4, v7
	v_mad_u64_u32 v[8:9], s[42:43], s17, v10, v[4:5]
	v_mov_b32_e32 v7, v8
	v_lshl_add_u64 v[6:7], v[6:7], 3, s[10:11]
	global_load_dwordx2 v[6:7], v[6:7], off
	s_waitcnt vmcnt(0)
	ds_write_b64 v1, v[6:7]
.LBB3_116:                              ;   in Loop: Header=BB3_114 Depth=1
	s_or_b64 exec, exec, s[2:3]
	v_subrev_u32_e32 v3, s22, v10
	s_mov_b32 s46, 0
	s_xor_b64 s[42:43], vcc, -1
	s_mov_b64 s[44:45], s[34:35]
	v_mov_b32_e32 v4, v0
	s_mov_b32 s47, 0
	s_waitcnt lgkmcnt(0)
	s_barrier
	s_branch .LBB3_118
.LBB3_117:                              ;   in Loop: Header=BB3_118 Depth=2
	s_or_b64 exec, exec, s[2:3]
	s_add_i32 s47, s47, 1
	s_add_i32 s46, s46, 8
	s_add_u32 s44, s44, s18
	s_addc_u32 s45, s45, s19
	s_cmpk_eq_i32 s47, 0x200
	v_add_u32_e32 v4, -1, v4
	s_cselect_b64 s[2:3], -1, 0
	s_and_b64 vcc, exec, s[2:3]
	s_cbranch_vccnz .LBB3_124
.LBB3_118:                              ;   Parent Loop BB3_114 Depth=1
                                        ; =>  This Inner Loop Header: Depth=2
	s_add_i32 s48, s33, s47
	s_cmp_ge_i32 s48, s21
	s_cbranch_scc1 .LBB3_123
; %bb.119:                              ;   in Loop: Header=BB3_118 Depth=2
	v_cmp_eq_u32_e32 vcc, s47, v0
	s_and_b64 s[50:51], s[40:41], vcc
	s_and_saveexec_b64 s[2:3], s[50:51]
	s_cbranch_execz .LBB3_121
; %bb.120:                              ;   in Loop: Header=BB3_118 Depth=2
	global_load_dwordx2 v[6:7], v5, s[44:45]
	ds_read_b64 v[8:9], v1
	s_waitcnt vmcnt(0) lgkmcnt(0)
	v_div_scale_f64 v[12:13], s[50:51], v[6:7], v[6:7], v[8:9]
	v_rcp_f64_e32 v[14:15], v[12:13]
	v_div_scale_f64 v[16:17], vcc, v[8:9], v[6:7], v[8:9]
	v_fma_f64 v[18:19], -v[12:13], v[14:15], 1.0
	v_fmac_f64_e32 v[14:15], v[14:15], v[18:19]
	v_fma_f64 v[18:19], -v[12:13], v[14:15], 1.0
	v_fmac_f64_e32 v[14:15], v[14:15], v[18:19]
	v_mul_f64 v[18:19], v[16:17], v[14:15]
	v_fma_f64 v[12:13], -v[12:13], v[18:19], v[16:17]
	v_div_fmas_f64 v[12:13], v[12:13], v[14:15], v[18:19]
	v_div_fixup_f64 v[6:7], v[12:13], v[6:7], v[8:9]
	ds_write_b64 v1, v[6:7]
.LBB3_121:                              ;   in Loop: Header=BB3_118 Depth=2
	s_or_b64 exec, exec, s[2:3]
	v_cmp_lt_u32_e32 vcc, s47, v0
	v_cmp_ge_i32_e64 s[2:3], s48, v3
	s_and_b64 s[48:49], s[42:43], vcc
	s_and_b64 s[48:49], s[48:49], s[2:3]
	s_waitcnt lgkmcnt(0)
	s_barrier
	s_and_saveexec_b64 s[2:3], s[48:49]
	s_cbranch_execz .LBB3_117
; %bb.122:                              ;   in Loop: Header=BB3_118 Depth=2
	v_lshl_add_u64 v[6:7], v[4:5], 3, s[44:45]
	global_load_dwordx2 v[6:7], v[6:7], off
	v_mov_b32_e32 v8, s46
	ds_read_b64 v[8:9], v8
	ds_read_b64 v[12:13], v1
	s_waitcnt vmcnt(0) lgkmcnt(0)
	v_fma_f64 v[6:7], -v[6:7], v[8:9], v[12:13]
	ds_write_b64 v1, v[6:7]
	s_branch .LBB3_117
.LBB3_123:                              ;   in Loop: Header=BB3_118 Depth=2
                                        ; implicit-def: $sgpr47
                                        ; implicit-def: $sgpr46
                                        ; implicit-def: $sgpr44_sgpr45
	s_cbranch_execz .LBB3_118
.LBB3_124:                              ;   in Loop: Header=BB3_114 Depth=1
	s_add_i32 s60, s33, 0x200
	s_cmp_ge_i32 s60, s21
	s_cselect_b64 s[2:3], -1, 0
	s_and_b64 vcc, exec, s[2:3]
	s_waitcnt lgkmcnt(0)
	s_barrier
	s_cbranch_vccnz .LBB3_144
; %bb.125:                              ;   in Loop: Header=BB3_114 Depth=1
	v_ashrrev_i32_e32 v3, 31, v2
	v_lshl_add_u64 v[6:7], s[38:39], 0, v[2:3]
	v_lshlrev_b64 v[6:7], 3, v[6:7]
	s_mov_b64 s[42:43], 0
	s_mov_b64 s[44:45], s[34:35]
	s_mov_b64 s[46:47], s[36:37]
	v_mov_b32_e32 v3, v0
	s_mov_b32 s61, s60
                                        ; implicit-def: $sgpr48_sgpr49
	s_branch .LBB3_128
.LBB3_126:                              ;   in Loop: Header=BB3_128 Depth=2
	v_mad_u64_u32 v[12:13], s[52:53], s16, v4, 0
	v_mov_b32_e32 v14, v13
	v_mad_u64_u32 v[14:15], s[52:53], s17, v4, v[14:15]
	v_mov_b32_e32 v13, v14
	v_lshl_add_u64 v[12:13], v[12:13], 3, s[10:11]
	global_load_dwordx2 v[14:15], v[12:13], off
	s_addk_i32 s61, 0x200
	s_add_u32 s46, s46, 0x1000
	s_addc_u32 s47, s47, 0
	s_add_u32 s44, s44, 0x1000
	s_addc_u32 s45, s45, 0
	s_cmp_ge_i32 s61, s21
	s_cselect_b64 s[52:53], -1, 0
	s_andn2_b64 s[48:49], s[48:49], exec
	s_and_b64 s[52:53], s[52:53], exec
	s_or_b64 s[48:49], s[48:49], s[52:53]
	s_waitcnt vmcnt(0)
	v_add_f64 v[8:9], v[14:15], -v[8:9]
	global_store_dwordx2 v[12:13], v[8:9], off
.LBB3_127:                              ;   in Loop: Header=BB3_128 Depth=2
	s_or_b64 exec, exec, s[50:51]
	s_and_b64 s[50:51], exec, s[48:49]
	s_or_b64 s[42:43], s[50:51], s[42:43]
	s_andn2_b64 exec, exec, s[42:43]
	s_cbranch_execz .LBB3_143
.LBB3_128:                              ;   Parent Loop BB3_114 Depth=1
                                        ; =>  This Loop Header: Depth=2
                                        ;       Child Loop BB3_131 Depth 3
	v_add_u32_e32 v4, s61, v0
	v_cmp_gt_i32_e32 vcc, s21, v4
	s_or_b64 s[48:49], s[48:49], exec
	s_and_saveexec_b64 s[50:51], vcc
	s_cbranch_execz .LBB3_127
; %bb.129:                              ;   in Loop: Header=BB3_128 Depth=2
	v_subrev_u32_e32 v11, s22, v4
	v_add_u32_e32 v12, 0x1ff, v3
	v_add_u32_e32 v3, 0x200, v3
	v_mov_b64_e32 v[8:9], 0
	s_mov_b32 s62, 0
	s_mov_b64 s[52:53], s[44:45]
	s_mov_b64 s[54:55], s[46:47]
	s_mov_b32 s63, 0
	s_branch .LBB3_131
.LBB3_130:                              ;   in Loop: Header=BB3_131 Depth=3
	s_or_b64 exec, exec, s[56:57]
	s_add_i32 s63, s63, 2
	s_add_u32 s54, s54, s20
	s_addc_u32 s55, s55, s23
	s_add_i32 s62, s62, 16
	s_add_u32 s52, s52, s20
	s_addc_u32 s53, s53, s23
	s_cmpk_eq_i32 s63, 0x200
	s_cbranch_scc1 .LBB3_126
.LBB3_131:                              ;   Parent Loop BB3_114 Depth=1
                                        ;     Parent Loop BB3_128 Depth=2
                                        ; =>    This Inner Loop Header: Depth=3
	v_cmp_ne_u32_e32 vcc, s63, v3
	s_add_i32 s64, s33, s63
	s_or_b64 s[56:57], s[40:41], vcc
	s_and_saveexec_b64 s[58:59], s[56:57]
	s_xor_b64 s[56:57], exec, s[58:59]
	s_cbranch_execz .LBB3_135
; %bb.132:                              ;   in Loop: Header=BB3_131 Depth=3
	s_cmp_lt_i32 s64, s21
	s_cselect_b64 s[58:59], -1, 0
	v_cmp_ge_i32_e32 vcc, s64, v11
	s_and_b64 s[66:67], s[58:59], vcc
	s_and_saveexec_b64 s[58:59], s[66:67]
	s_cbranch_execz .LBB3_134
; %bb.133:                              ;   in Loop: Header=BB3_131 Depth=3
	v_lshl_add_u64 v[14:15], s[52:53], 0, v[6:7]
	global_load_dwordx2 v[14:15], v[14:15], off
	v_mov_b32_e32 v13, s62
	ds_read_b64 v[16:17], v13
	s_waitcnt vmcnt(0) lgkmcnt(0)
	v_fmac_f64_e32 v[8:9], v[14:15], v[16:17]
.LBB3_134:                              ;   in Loop: Header=BB3_131 Depth=3
	s_or_b64 exec, exec, s[58:59]
.LBB3_135:                              ;   in Loop: Header=BB3_131 Depth=3
	s_andn2_saveexec_b64 s[56:57], s[56:57]
	s_cbranch_execz .LBB3_137
; %bb.136:                              ;   in Loop: Header=BB3_131 Depth=3
	v_mov_b32_e32 v13, s62
	ds_read_b64 v[14:15], v13
	s_waitcnt lgkmcnt(0)
	v_add_f64 v[8:9], v[8:9], v[14:15]
.LBB3_137:                              ;   in Loop: Header=BB3_131 Depth=3
	s_or_b64 exec, exec, s[56:57]
	v_cmp_ne_u32_e32 vcc, s63, v12
	s_or_b64 s[56:57], s[40:41], vcc
	s_and_saveexec_b64 s[58:59], s[56:57]
	s_xor_b64 s[56:57], exec, s[58:59]
	s_cbranch_execz .LBB3_141
; %bb.138:                              ;   in Loop: Header=BB3_131 Depth=3
	s_add_i32 s64, s64, 1
	s_cmp_lt_i32 s64, s21
	s_cselect_b64 s[58:59], -1, 0
	v_cmp_ge_i32_e32 vcc, s64, v11
	s_and_b64 s[64:65], s[58:59], vcc
	s_and_saveexec_b64 s[58:59], s[64:65]
	s_cbranch_execz .LBB3_140
; %bb.139:                              ;   in Loop: Header=BB3_131 Depth=3
	v_lshl_add_u64 v[14:15], s[54:55], 0, v[6:7]
	global_load_dwordx2 v[14:15], v[14:15], off
	v_mov_b32_e32 v13, s62
	ds_read_b64 v[16:17], v13 offset:8
	s_waitcnt vmcnt(0) lgkmcnt(0)
	v_fmac_f64_e32 v[8:9], v[14:15], v[16:17]
.LBB3_140:                              ;   in Loop: Header=BB3_131 Depth=3
	s_or_b64 exec, exec, s[58:59]
.LBB3_141:                              ;   in Loop: Header=BB3_131 Depth=3
	s_andn2_saveexec_b64 s[56:57], s[56:57]
	s_cbranch_execz .LBB3_130
; %bb.142:                              ;   in Loop: Header=BB3_131 Depth=3
	v_mov_b32_e32 v13, s62
	ds_read_b64 v[14:15], v13 offset:8
	s_waitcnt lgkmcnt(0)
	v_add_f64 v[8:9], v[8:9], v[14:15]
	s_branch .LBB3_130
.LBB3_143:                              ;   in Loop: Header=BB3_114 Depth=1
	s_or_b64 exec, exec, s[42:43]
.LBB3_144:                              ;   in Loop: Header=BB3_114 Depth=1
	s_and_saveexec_b64 s[42:43], s[0:1]
	s_cbranch_execz .LBB3_113
; %bb.145:                              ;   in Loop: Header=BB3_114 Depth=1
	ds_read_b64 v[6:7], v1
	v_mad_u64_u32 v[8:9], s[0:1], s16, v10, 0
	v_mov_b32_e32 v4, v9
	v_mad_u64_u32 v[10:11], s[0:1], s17, v10, v[4:5]
	v_mov_b32_e32 v9, v10
	v_lshl_add_u64 v[8:9], v[8:9], 3, s[10:11]
	s_waitcnt lgkmcnt(0)
	global_store_dwordx2 v[8:9], v[6:7], off
	s_branch .LBB3_113
.LBB3_146:
	s_mov_b64 s[0:1], 0
.LBB3_147:
	s_andn2_b64 vcc, exec, s[0:1]
	s_cbranch_vccnz .LBB3_183
; %bb.148:
	s_andn2_b64 vcc, exec, s[12:13]
	s_cbranch_vccnz .LBB3_183
; %bb.149:
	s_add_i32 s34, s21, 0xfffffe00
	s_add_i32 s12, s21, -1
	s_add_u32 s2, s28, s30
	s_addc_u32 s3, s29, s31
	s_ashr_i32 s23, s22, 31
	s_lshl_b64 s[0:1], s[22:23], 3
	s_add_u32 s2, s2, s0
	s_addc_u32 s3, s3, s1
	s_ashr_i32 s13, s12, 31
	s_lshl_b64 s[0:1], s[12:13], 3
	s_sub_u32 s0, s2, s0
	s_subb_u32 s1, s3, s1
	s_add_u32 s14, s4, s0
	s_addc_u32 s15, s5, s1
	s_lshl_b64 s[18:19], s[8:9], 3
	s_add_u32 s13, s18, 8
	s_addc_u32 s20, s19, 0
	s_add_u32 s0, s6, s26
	s_addc_u32 s1, s7, s27
	s_add_u32 s0, s0, s22
	s_addc_u32 s1, s1, s23
	s_ashr_i32 s3, s21, 31
	s_mov_b32 s2, s21
	s_lshl_b64 s[0:1], s[0:1], 3
	s_lshl_b64 s[2:3], s[2:3], 3
	s_sub_u32 s0, s0, s2
	s_subb_u32 s1, s1, s3
	s_add_u32 s0, s4, s0
	s_addc_u32 s1, s5, s1
	s_add_u32 s4, s0, 0xff8
	s_addc_u32 s5, s1, 0
	s_add_i32 s23, s21, 0xfffffe01
	s_add_u32 s33, s0, 0x1000
	s_addc_u32 s40, s1, 0
	s_lshl_b64 s[0:1], s[8:9], 4
	v_mov_b32_e32 v1, 0x2000
	v_add_u32_e32 v3, s21, v0
	s_add_u32 s41, s0, -16
	v_lshl_or_b32 v1, v0, 3, v1
	v_add_u32_e32 v2, 0xfffffe00, v3
	v_add_u32_e32 v10, 0xfffffc00, v3
	s_addc_u32 s42, s1, -1
	v_mov_b32_e32 v5, 0
	s_xor_b64 s[6:7], s[24:25], -1
	s_branch .LBB3_151
.LBB3_150:                              ;   in Loop: Header=BB3_151 Depth=1
	s_or_b64 exec, exec, s[8:9]
	s_addk_i32 s12, 0xfe00
	s_add_u32 s14, s14, 0x1000
	s_addc_u32 s15, s15, 0
	s_addk_i32 s21, 0xfe00
	s_add_u32 s4, s4, 0x1000
	s_addc_u32 s5, s5, 0
	s_addk_i32 s23, 0xfe00
	s_add_u32 s33, s33, 0x1000
	v_add_u32_e32 v2, 0xfffffe00, v2
	v_add_u32_e32 v10, 0xfffffe00, v10
	s_addc_u32 s40, s40, 0
	s_and_b64 vcc, exec, s[2:3]
	s_mov_b32 s34, s43
	s_barrier
	s_cbranch_vccnz .LBB3_183
.LBB3_151:                              ; =>This Loop Header: Depth=1
                                        ;     Child Loop BB3_156 Depth 2
                                        ;     Child Loop BB3_165 Depth 2
                                        ;       Child Loop BB3_168 Depth 3
	v_add_u32_e32 v11, s34, v0
	v_cmp_gt_i32_e32 vcc, 0, v11
	v_cmp_lt_i32_e64 s[0:1], -1, v11
	s_and_saveexec_b64 s[2:3], s[0:1]
	s_cbranch_execz .LBB3_153
; %bb.152:                              ;   in Loop: Header=BB3_151 Depth=1
	v_mad_u64_u32 v[6:7], s[8:9], s16, v11, 0
	v_mov_b32_e32 v4, v7
	v_mad_u64_u32 v[8:9], s[8:9], s17, v11, v[4:5]
	v_mov_b32_e32 v7, v8
	v_lshl_add_u64 v[6:7], v[6:7], 3, s[10:11]
	global_load_dwordx2 v[6:7], v[6:7], off
	s_waitcnt vmcnt(0)
	ds_write_b64 v1, v[6:7]
.LBB3_153:                              ;   in Loop: Header=BB3_151 Depth=1
	s_or_b64 exec, exec, s[2:3]
	v_mov_b32_e32 v3, v5
	v_mov_b64_e32 v[6:7], s[14:15]
	v_lshl_add_u64 v[8:9], v[2:3], 3, s[14:15]
	v_add_u32_e32 v3, s22, v11
	s_movk_i32 s24, 0x1ff
	s_movk_i32 s25, 0x2ff8
	s_xor_b64 s[8:9], vcc, -1
	s_mov_b32 s26, s12
	s_waitcnt lgkmcnt(0)
	s_barrier
	s_branch .LBB3_156
.LBB3_154:                              ;   in Loop: Header=BB3_156 Depth=2
	s_or_b64 exec, exec, s[2:3]
	s_add_i32 s24, s24, -1
	s_add_i32 s25, s25, -8
	;; [unrolled: 1-line block ×3, first 2 shown]
	s_cmp_eq_u32 s24, -1
	v_lshl_add_u64 v[8:9], v[8:9], 0, 8
	v_lshl_add_u64 v[6:7], v[6:7], 0, 8
	s_cselect_b64 s[2:3], -1, 0
.LBB3_155:                              ;   in Loop: Header=BB3_156 Depth=2
	s_and_b64 vcc, exec, s[2:3]
	s_cbranch_vccnz .LBB3_161
.LBB3_156:                              ;   Parent Loop BB3_151 Depth=1
                                        ; =>  This Inner Loop Header: Depth=2
	s_add_i32 s27, s12, s24
	s_addk_i32 s27, 0xfe01
	s_cmp_lt_i32 s27, 0
	s_mov_b64 s[2:3], -1
	s_cbranch_scc1 .LBB3_155
; %bb.157:                              ;   in Loop: Header=BB3_156 Depth=2
	v_cmp_eq_u32_e32 vcc, s24, v0
	s_and_b64 s[28:29], s[6:7], vcc
	s_and_saveexec_b64 s[2:3], s[28:29]
	s_cbranch_execz .LBB3_159
; %bb.158:                              ;   in Loop: Header=BB3_156 Depth=2
	s_mul_i32 s28, s20, s26
	s_mul_hi_u32 s29, s13, s26
	s_add_i32 s29, s29, s28
	s_mul_i32 s28, s13, s26
	v_lshl_add_u64 v[12:13], v[6:7], 0, s[28:29]
	global_load_dwordx2 v[12:13], v[12:13], off
	ds_read_b64 v[14:15], v1
	s_waitcnt vmcnt(0) lgkmcnt(0)
	v_div_scale_f64 v[16:17], s[28:29], v[12:13], v[12:13], v[14:15]
	v_rcp_f64_e32 v[18:19], v[16:17]
	v_div_scale_f64 v[20:21], vcc, v[14:15], v[12:13], v[14:15]
	v_fma_f64 v[22:23], -v[16:17], v[18:19], 1.0
	v_fmac_f64_e32 v[18:19], v[18:19], v[22:23]
	v_fma_f64 v[22:23], -v[16:17], v[18:19], 1.0
	v_fmac_f64_e32 v[18:19], v[18:19], v[22:23]
	v_mul_f64 v[22:23], v[20:21], v[18:19]
	v_fma_f64 v[16:17], -v[16:17], v[22:23], v[20:21]
	v_div_fmas_f64 v[16:17], v[16:17], v[18:19], v[22:23]
	v_div_fixup_f64 v[12:13], v[16:17], v[12:13], v[14:15]
	ds_write_b64 v1, v[12:13]
.LBB3_159:                              ;   in Loop: Header=BB3_156 Depth=2
	s_or_b64 exec, exec, s[2:3]
	v_cmp_gt_u32_e32 vcc, s24, v0
	v_cmp_le_i32_e64 s[2:3], s27, v3
	s_and_b64 s[28:29], s[8:9], vcc
	s_and_b64 s[28:29], s[28:29], s[2:3]
	s_waitcnt lgkmcnt(0)
	s_barrier
	s_and_saveexec_b64 s[2:3], s[28:29]
	s_cbranch_execz .LBB3_154
; %bb.160:                              ;   in Loop: Header=BB3_156 Depth=2
	v_mov_b32_e32 v4, s26
	v_mad_u64_u32 v[12:13], s[28:29], s18, v4, v[8:9]
	s_mul_i32 s27, s19, s26
	v_add_u32_e32 v13, s27, v13
	global_load_dwordx2 v[12:13], v[12:13], off
	v_mov_b32_e32 v4, s25
	ds_read_b64 v[14:15], v4
	ds_read_b64 v[16:17], v1
	s_waitcnt vmcnt(0) lgkmcnt(0)
	v_fma_f64 v[12:13], -v[12:13], v[14:15], v[16:17]
	ds_write_b64 v1, v[12:13]
	s_branch .LBB3_154
.LBB3_161:                              ;   in Loop: Header=BB3_151 Depth=1
	s_add_i32 s43, s34, 0xfffffe00
	s_cmp_lt_i32 s34, 1
	s_cselect_b64 s[2:3], -1, 0
	s_and_b64 vcc, exec, s[2:3]
	s_waitcnt lgkmcnt(0)
	s_barrier
	s_cbranch_vccnz .LBB3_181
; %bb.162:                              ;   in Loop: Header=BB3_151 Depth=1
	s_mul_i32 s8, s19, s34
	s_mul_hi_u32 s9, s18, s34
	s_add_i32 s9, s9, s8
	s_mul_i32 s8, s18, s34
	s_add_u32 s8, s33, s8
	s_addc_u32 s9, s40, s9
	s_mov_b64 s[24:25], 0
	v_mov_b32_e32 v4, v10
	v_mov_b32_e32 v3, v0
	s_mov_b32 s44, s43
                                        ; implicit-def: $sgpr26_sgpr27
	s_branch .LBB3_165
.LBB3_163:                              ;   in Loop: Header=BB3_165 Depth=2
	v_mad_u64_u32 v[8:9], s[30:31], s16, v12, 0
	v_mov_b32_e32 v14, v9
	v_mad_u64_u32 v[12:13], s[30:31], s17, v12, v[14:15]
	v_mov_b32_e32 v9, v12
	v_lshl_add_u64 v[8:9], v[8:9], 3, s[10:11]
	global_load_dwordx2 v[12:13], v[8:9], off
	s_add_i32 s34, s44, 0xfffffe00
	s_cmp_lt_i32 s44, 1
	s_cselect_b64 s[30:31], -1, 0
	s_andn2_b64 s[26:27], s[26:27], exec
	s_and_b64 s[30:31], s[30:31], exec
	v_add_u32_e32 v4, 0xfffffe00, v4
	s_or_b64 s[26:27], s[26:27], s[30:31]
	s_mov_b32 s44, s34
	s_waitcnt vmcnt(0)
	v_add_f64 v[6:7], v[12:13], -v[6:7]
	global_store_dwordx2 v[8:9], v[6:7], off
.LBB3_164:                              ;   in Loop: Header=BB3_165 Depth=2
	s_or_b64 exec, exec, s[28:29]
	s_and_b64 s[28:29], exec, s[26:27]
	s_or_b64 s[24:25], s[28:29], s[24:25]
	s_andn2_b64 exec, exec, s[24:25]
	s_cbranch_execz .LBB3_180
.LBB3_165:                              ;   Parent Loop BB3_151 Depth=1
                                        ; =>  This Loop Header: Depth=2
                                        ;       Child Loop BB3_168 Depth 3
	v_add_u32_e32 v12, s44, v0
	v_cmp_lt_i32_e32 vcc, -1, v12
	s_or_b64 s[26:27], s[26:27], exec
	s_and_saveexec_b64 s[28:29], vcc
	s_cbranch_execz .LBB3_164
; %bb.166:                              ;   in Loop: Header=BB3_165 Depth=2
	v_lshlrev_b64 v[8:9], 3, v[4:5]
	v_add_u32_e32 v13, s22, v12
	v_add_u32_e32 v14, 0xfffffdff, v3
	;; [unrolled: 1-line block ×3, first 2 shown]
	v_mov_b64_e32 v[6:7], 0
	s_mov_b32 s45, 0
	s_movk_i32 s46, 0x2000
	s_mov_b64 s[30:31], s[8:9]
	s_mov_b32 s47, s23
	s_mov_b64 s[34:35], s[4:5]
	s_branch .LBB3_168
.LBB3_167:                              ;   in Loop: Header=BB3_168 Depth=3
	s_or_b64 exec, exec, s[36:37]
	s_add_i32 s45, s45, 2
	s_add_i32 s46, s46, 16
	s_add_u32 s34, s34, -16
	s_addc_u32 s35, s35, -1
	s_add_i32 s47, s47, 2
	s_add_u32 s30, s30, s41
	s_addc_u32 s31, s31, s42
	s_cmpk_eq_i32 s45, 0x200
	s_cbranch_scc1 .LBB3_163
.LBB3_168:                              ;   Parent Loop BB3_151 Depth=1
                                        ;     Parent Loop BB3_165 Depth=2
                                        ; =>    This Inner Loop Header: Depth=3
	v_cmp_ne_u32_e32 vcc, s45, v3
	s_add_i32 s48, s21, s45
	s_or_b64 s[36:37], s[6:7], vcc
	s_and_saveexec_b64 s[38:39], s[36:37]
	s_xor_b64 s[36:37], exec, s[38:39]
	s_cbranch_execz .LBB3_172
; %bb.169:                              ;   in Loop: Header=BB3_168 Depth=3
	s_add_i32 s38, s48, 0xfffffe00
	v_cmp_le_i32_e32 vcc, s38, v13
	s_and_saveexec_b64 s[38:39], vcc
	s_cbranch_execz .LBB3_171
; %bb.170:                              ;   in Loop: Header=BB3_168 Depth=3
	v_lshl_add_u64 v[16:17], s[30:31], 0, v[8:9]
	global_load_dwordx2 v[16:17], v[16:17], off
	v_mov_b32_e32 v15, s46
	ds_read_b64 v[18:19], v15
	s_waitcnt vmcnt(0) lgkmcnt(0)
	v_fmac_f64_e32 v[6:7], v[16:17], v[18:19]
.LBB3_171:                              ;   in Loop: Header=BB3_168 Depth=3
	s_or_b64 exec, exec, s[38:39]
.LBB3_172:                              ;   in Loop: Header=BB3_168 Depth=3
	s_andn2_saveexec_b64 s[36:37], s[36:37]
	s_cbranch_execz .LBB3_174
; %bb.173:                              ;   in Loop: Header=BB3_168 Depth=3
	v_mov_b32_e32 v15, s46
	ds_read_b64 v[16:17], v15
	s_waitcnt lgkmcnt(0)
	v_add_f64 v[6:7], v[6:7], v[16:17]
.LBB3_174:                              ;   in Loop: Header=BB3_168 Depth=3
	s_or_b64 exec, exec, s[36:37]
	v_cmp_ne_u32_e32 vcc, s45, v14
	s_or_b64 s[36:37], s[6:7], vcc
	s_and_saveexec_b64 s[38:39], s[36:37]
	s_xor_b64 s[36:37], exec, s[38:39]
	s_cbranch_execz .LBB3_178
; %bb.175:                              ;   in Loop: Header=BB3_168 Depth=3
	s_addk_i32 s48, 0xfe01
	v_cmp_le_i32_e32 vcc, s48, v13
	s_and_saveexec_b64 s[38:39], vcc
	s_cbranch_execz .LBB3_177
; %bb.176:                              ;   in Loop: Header=BB3_168 Depth=3
	s_mul_i32 s48, s19, s47
	s_mul_hi_u32 s49, s18, s47
	s_add_i32 s49, s49, s48
	s_mul_i32 s48, s18, s47
	s_add_u32 s48, s34, s48
	s_addc_u32 s49, s35, s49
	v_lshl_add_u64 v[16:17], s[48:49], 0, v[8:9]
	global_load_dwordx2 v[16:17], v[16:17], off
	v_mov_b32_e32 v15, s46
	ds_read_b64 v[18:19], v15 offset:8
	s_waitcnt vmcnt(0) lgkmcnt(0)
	v_fmac_f64_e32 v[6:7], v[16:17], v[18:19]
.LBB3_177:                              ;   in Loop: Header=BB3_168 Depth=3
	s_or_b64 exec, exec, s[38:39]
.LBB3_178:                              ;   in Loop: Header=BB3_168 Depth=3
	s_andn2_saveexec_b64 s[36:37], s[36:37]
	s_cbranch_execz .LBB3_167
; %bb.179:                              ;   in Loop: Header=BB3_168 Depth=3
	v_mov_b32_e32 v15, s46
	ds_read_b64 v[16:17], v15 offset:8
	s_waitcnt lgkmcnt(0)
	v_add_f64 v[6:7], v[6:7], v[16:17]
	s_branch .LBB3_167
.LBB3_180:                              ;   in Loop: Header=BB3_151 Depth=1
	s_or_b64 exec, exec, s[24:25]
.LBB3_181:                              ;   in Loop: Header=BB3_151 Depth=1
	s_and_saveexec_b64 s[8:9], s[0:1]
	s_cbranch_execz .LBB3_150
; %bb.182:                              ;   in Loop: Header=BB3_151 Depth=1
	ds_read_b64 v[6:7], v1
	v_mad_u64_u32 v[8:9], s[0:1], s16, v11, 0
	v_mov_b32_e32 v4, v9
	v_mad_u64_u32 v[12:13], s[0:1], s17, v11, v[4:5]
	v_mov_b32_e32 v9, v12
	v_lshl_add_u64 v[8:9], v[8:9], 3, s[10:11]
	s_waitcnt lgkmcnt(0)
	global_store_dwordx2 v[8:9], v[6:7], off
	s_branch .LBB3_150
.LBB3_183:
	s_endpgm
	.section	.rodata,"a",@progbits
	.p2align	6, 0x0
	.amdhsa_kernel _ZL19rocblas_tbsv_kernelILb0ELi512EPKdPdEv18rocblas_operation_bbiiT1_lllT2_lll
		.amdhsa_group_segment_fixed_size 16384
		.amdhsa_private_segment_fixed_size 0
		.amdhsa_kernarg_size 80
		.amdhsa_user_sgpr_count 2
		.amdhsa_user_sgpr_dispatch_ptr 0
		.amdhsa_user_sgpr_queue_ptr 0
		.amdhsa_user_sgpr_kernarg_segment_ptr 1
		.amdhsa_user_sgpr_dispatch_id 0
		.amdhsa_user_sgpr_kernarg_preload_length 0
		.amdhsa_user_sgpr_kernarg_preload_offset 0
		.amdhsa_user_sgpr_private_segment_size 0
		.amdhsa_uses_dynamic_stack 0
		.amdhsa_enable_private_segment 0
		.amdhsa_system_sgpr_workgroup_id_x 1
		.amdhsa_system_sgpr_workgroup_id_y 0
		.amdhsa_system_sgpr_workgroup_id_z 0
		.amdhsa_system_sgpr_workgroup_info 0
		.amdhsa_system_vgpr_workitem_id 0
		.amdhsa_next_free_vgpr 26
		.amdhsa_next_free_sgpr 68
		.amdhsa_accum_offset 28
		.amdhsa_reserve_vcc 1
		.amdhsa_float_round_mode_32 0
		.amdhsa_float_round_mode_16_64 0
		.amdhsa_float_denorm_mode_32 3
		.amdhsa_float_denorm_mode_16_64 3
		.amdhsa_dx10_clamp 1
		.amdhsa_ieee_mode 1
		.amdhsa_fp16_overflow 0
		.amdhsa_tg_split 0
		.amdhsa_exception_fp_ieee_invalid_op 0
		.amdhsa_exception_fp_denorm_src 0
		.amdhsa_exception_fp_ieee_div_zero 0
		.amdhsa_exception_fp_ieee_overflow 0
		.amdhsa_exception_fp_ieee_underflow 0
		.amdhsa_exception_fp_ieee_inexact 0
		.amdhsa_exception_int_div_zero 0
	.end_amdhsa_kernel
	.section	.text._ZL19rocblas_tbsv_kernelILb0ELi512EPKdPdEv18rocblas_operation_bbiiT1_lllT2_lll,"axG",@progbits,_ZL19rocblas_tbsv_kernelILb0ELi512EPKdPdEv18rocblas_operation_bbiiT1_lllT2_lll,comdat
.Lfunc_end3:
	.size	_ZL19rocblas_tbsv_kernelILb0ELi512EPKdPdEv18rocblas_operation_bbiiT1_lllT2_lll, .Lfunc_end3-_ZL19rocblas_tbsv_kernelILb0ELi512EPKdPdEv18rocblas_operation_bbiiT1_lllT2_lll
                                        ; -- End function
	.set _ZL19rocblas_tbsv_kernelILb0ELi512EPKdPdEv18rocblas_operation_bbiiT1_lllT2_lll.num_vgpr, 26
	.set _ZL19rocblas_tbsv_kernelILb0ELi512EPKdPdEv18rocblas_operation_bbiiT1_lllT2_lll.num_agpr, 0
	.set _ZL19rocblas_tbsv_kernelILb0ELi512EPKdPdEv18rocblas_operation_bbiiT1_lllT2_lll.numbered_sgpr, 68
	.set _ZL19rocblas_tbsv_kernelILb0ELi512EPKdPdEv18rocblas_operation_bbiiT1_lllT2_lll.num_named_barrier, 0
	.set _ZL19rocblas_tbsv_kernelILb0ELi512EPKdPdEv18rocblas_operation_bbiiT1_lllT2_lll.private_seg_size, 0
	.set _ZL19rocblas_tbsv_kernelILb0ELi512EPKdPdEv18rocblas_operation_bbiiT1_lllT2_lll.uses_vcc, 1
	.set _ZL19rocblas_tbsv_kernelILb0ELi512EPKdPdEv18rocblas_operation_bbiiT1_lllT2_lll.uses_flat_scratch, 0
	.set _ZL19rocblas_tbsv_kernelILb0ELi512EPKdPdEv18rocblas_operation_bbiiT1_lllT2_lll.has_dyn_sized_stack, 0
	.set _ZL19rocblas_tbsv_kernelILb0ELi512EPKdPdEv18rocblas_operation_bbiiT1_lllT2_lll.has_recursion, 0
	.set _ZL19rocblas_tbsv_kernelILb0ELi512EPKdPdEv18rocblas_operation_bbiiT1_lllT2_lll.has_indirect_call, 0
	.section	.AMDGPU.csdata,"",@progbits
; Kernel info:
; codeLenInByte = 6240
; TotalNumSgprs: 74
; NumVgprs: 26
; NumAgprs: 0
; TotalNumVgprs: 26
; ScratchSize: 0
; MemoryBound: 0
; FloatMode: 240
; IeeeMode: 1
; LDSByteSize: 16384 bytes/workgroup (compile time only)
; SGPRBlocks: 9
; VGPRBlocks: 3
; NumSGPRsForWavesPerEU: 74
; NumVGPRsForWavesPerEU: 26
; AccumOffset: 28
; Occupancy: 8
; WaveLimiterHint : 0
; COMPUTE_PGM_RSRC2:SCRATCH_EN: 0
; COMPUTE_PGM_RSRC2:USER_SGPR: 2
; COMPUTE_PGM_RSRC2:TRAP_HANDLER: 0
; COMPUTE_PGM_RSRC2:TGID_X_EN: 1
; COMPUTE_PGM_RSRC2:TGID_Y_EN: 0
; COMPUTE_PGM_RSRC2:TGID_Z_EN: 0
; COMPUTE_PGM_RSRC2:TIDIG_COMP_CNT: 0
; COMPUTE_PGM_RSRC3_GFX90A:ACCUM_OFFSET: 6
; COMPUTE_PGM_RSRC3_GFX90A:TG_SPLIT: 0
	.section	.text._ZL19rocblas_tbsv_kernelILb1ELi512EPK19rocblas_complex_numIfEPS1_Ev18rocblas_operation_bbiiT1_lllT2_lll,"axG",@progbits,_ZL19rocblas_tbsv_kernelILb1ELi512EPK19rocblas_complex_numIfEPS1_Ev18rocblas_operation_bbiiT1_lllT2_lll,comdat
	.globl	_ZL19rocblas_tbsv_kernelILb1ELi512EPK19rocblas_complex_numIfEPS1_Ev18rocblas_operation_bbiiT1_lllT2_lll ; -- Begin function _ZL19rocblas_tbsv_kernelILb1ELi512EPK19rocblas_complex_numIfEPS1_Ev18rocblas_operation_bbiiT1_lllT2_lll
	.p2align	8
	.type	_ZL19rocblas_tbsv_kernelILb1ELi512EPK19rocblas_complex_numIfEPS1_Ev18rocblas_operation_bbiiT1_lllT2_lll,@function
_ZL19rocblas_tbsv_kernelILb1ELi512EPK19rocblas_complex_numIfEPS1_Ev18rocblas_operation_bbiiT1_lllT2_lll: ; @_ZL19rocblas_tbsv_kernelILb1ELi512EPK19rocblas_complex_numIfEPS1_Ev18rocblas_operation_bbiiT1_lllT2_lll
; %bb.0:
	s_load_dwordx2 s[38:39], s[0:1], 0x0
	s_load_dwordx4 s[20:23], s[0:1], 0x4
	s_load_dwordx16 s[4:19], s[0:1], 0x10
	s_waitcnt lgkmcnt(0)
	s_bitcmp1_b32 s39, 0
	s_cselect_b64 s[0:1], -1, 0
	s_xor_b64 s[36:37], s[0:1], -1
	s_bitcmp1_b32 s20, 8
	s_mul_i32 s0, s11, s2
	s_mul_hi_u32 s1, s10, s2
	s_cselect_b64 s[24:25], -1, 0
	s_add_i32 s27, s1, s0
	s_mul_i32 s26, s10, s2
	s_lshl_b64 s[28:29], s[26:27], 3
	s_add_u32 s0, s4, s28
	s_addc_u32 s1, s5, s29
	s_lshl_b64 s[30:31], s[6:7], 3
	s_add_u32 s34, s0, s30
	s_addc_u32 s35, s1, s31
	s_mul_i32 s0, s19, s2
	s_mul_hi_u32 s1, s18, s2
	s_add_i32 s1, s1, s0
	s_mul_i32 s0, s18, s2
	s_lshl_b64 s[0:1], s[0:1], 3
	s_add_u32 s2, s12, s0
	s_addc_u32 s3, s13, s1
	s_lshl_b64 s[0:1], s[14:15], 3
	s_add_u32 s10, s2, s0
	s_addc_u32 s11, s3, s1
	s_cmp_gt_i32 s21, 0
	s_cselect_b64 s[12:13], -1, 0
	s_cmpk_lg_i32 s38, 0x6f
	s_mov_b64 s[0:1], -1
	s_cbranch_scc0 .LBB4_107
; %bb.1:
	s_and_b64 vcc, exec, s[36:37]
	s_cbranch_vccz .LBB4_54
; %bb.2:
	s_andn2_b64 vcc, exec, s[12:13]
	s_cbranch_vccnz .LBB4_53
; %bb.3:
	s_add_i32 s46, s21, 0xfffffe00
	s_add_i32 s20, s21, -1
	s_add_u32 s2, s28, s30
	s_addc_u32 s3, s29, s31
	s_ashr_i32 s1, s21, 31
	s_mov_b32 s0, s21
	s_lshl_b64 s[0:1], s[0:1], 3
	s_add_u32 s0, s2, s0
	s_addc_u32 s1, s3, s1
	s_add_u32 s0, s4, s0
	s_addc_u32 s1, s5, s1
	v_mov_b32_e32 v1, 0x3000
	s_add_u32 s14, s0, 0xfffff000
	v_add_u32_e32 v2, s21, v0
	v_lshl_or_b32 v1, v0, 3, v1
	v_sub_u32_e32 v12, 0, v0
	s_addc_u32 s15, s1, -1
	v_add_u32_e32 v13, 0xfffffc00, v2
	s_lshl_b64 s[18:19], s[8:9], 3
	s_xor_b64 s[38:39], s[24:25], -1
	v_mov_b32_e32 v3, 0
	s_mov_b64 s[40:41], 0x1000
	s_mov_b32 s23, s21
	s_branch .LBB4_5
.LBB4_4:                                ;   in Loop: Header=BB4_5 Depth=1
	s_or_b64 exec, exec, s[42:43]
	s_addk_i32 s20, 0xfe00
	s_addk_i32 s23, 0xfe00
	s_add_u32 s14, s14, 0xfffff000
	s_addc_u32 s15, s15, -1
	v_add_u32_e32 v13, 0xfffffe00, v13
	s_andn2_b64 vcc, exec, s[2:3]
	s_mov_b32 s46, s33
	s_barrier
	s_cbranch_vccz .LBB4_53
.LBB4_5:                                ; =>This Loop Header: Depth=1
                                        ;     Child Loop BB4_10 Depth 2
                                        ;     Child Loop BB4_23 Depth 2
                                        ;       Child Loop BB4_26 Depth 3
	v_add_u32_e32 v14, s46, v0
	v_cmp_gt_i32_e32 vcc, 0, v14
	v_cmp_lt_i32_e64 s[0:1], -1, v14
	s_and_saveexec_b64 s[2:3], s[0:1]
	s_cbranch_execz .LBB4_7
; %bb.6:                                ;   in Loop: Header=BB4_5 Depth=1
	v_mad_u64_u32 v[4:5], s[42:43], s16, v14, 0
	v_mov_b32_e32 v2, v5
	v_mad_u64_u32 v[6:7], s[42:43], s17, v14, v[2:3]
	v_mov_b32_e32 v5, v6
	v_lshl_add_u64 v[4:5], v[4:5], 3, s[10:11]
	global_load_dwordx2 v[4:5], v[4:5], off
	s_waitcnt vmcnt(0)
	ds_write_b64 v1, v[4:5]
.LBB4_7:                                ;   in Loop: Header=BB4_5 Depth=1
	s_or_b64 exec, exec, s[2:3]
	v_ashrrev_i32_e32 v2, 31, v14
	v_mul_lo_u32 v6, s9, v14
	v_mul_lo_u32 v2, s8, v2
	v_mad_u64_u32 v[4:5], s[2:3], s8, v14, 0
	v_add3_u32 v5, v5, v2, v6
	v_add_u32_e32 v15, s22, v14
	v_lshl_add_u64 v[4:5], v[4:5], 3, s[34:35]
	s_movk_i32 s33, 0x1ff
	s_movk_i32 s47, 0x3ff8
	s_xor_b64 s[42:43], vcc, -1
	s_waitcnt lgkmcnt(0)
	s_barrier
	s_branch .LBB4_10
.LBB4_8:                                ;   in Loop: Header=BB4_10 Depth=2
	s_or_b64 exec, exec, s[2:3]
	s_add_i32 s33, s33, -1
	s_add_i32 s47, s47, -8
	s_cmp_eq_u32 s33, -1
	s_cselect_b64 s[2:3], -1, 0
.LBB4_9:                                ;   in Loop: Header=BB4_10 Depth=2
	s_and_b64 vcc, exec, s[2:3]
	s_cbranch_vccnz .LBB4_19
.LBB4_10:                               ;   Parent Loop BB4_5 Depth=1
                                        ; =>  This Inner Loop Header: Depth=2
	s_add_i32 s48, s20, s33
	s_addk_i32 s48, 0xfe01
	s_cmp_lt_i32 s48, 0
	s_mov_b64 s[2:3], -1
	s_cbranch_scc1 .LBB4_9
; %bb.11:                               ;   in Loop: Header=BB4_10 Depth=2
	v_add_u32_e32 v2, s33, v12
	v_cmp_eq_u32_e32 vcc, 0, v2
	s_and_b64 s[44:45], s[38:39], vcc
	s_and_saveexec_b64 s[2:3], s[44:45]
	s_cbranch_execz .LBB4_17
; %bb.12:                               ;   in Loop: Header=BB4_10 Depth=2
	s_mul_i32 s44, s9, s48
	s_mul_hi_u32 s45, s8, s48
	s_add_i32 s45, s45, s44
	s_mul_i32 s44, s8, s48
	s_lshl_b64 s[44:45], s[44:45], 3
	s_add_u32 s44, s34, s44
	s_addc_u32 s45, s35, s45
	global_load_dwordx2 v[8:9], v3, s[44:45]
	ds_read_b64 v[6:7], v1
	s_mov_b64 s[44:45], -1
                                        ; implicit-def: $vgpr10_vgpr11
	s_waitcnt vmcnt(0)
	v_cmp_ngt_f32_e64 s[50:51], |v8|, |v9|
	s_and_b64 vcc, exec, s[50:51]
	s_cbranch_vccz .LBB4_14
; %bb.13:                               ;   in Loop: Header=BB4_10 Depth=2
	v_div_scale_f32 v10, s[44:45], -v9, -v9, v8
	v_rcp_f32_e32 v11, v10
	v_div_scale_f32 v16, vcc, v8, -v9, v8
	v_fma_f32 v17, -v10, v11, 1.0
	v_fmac_f32_e32 v11, v17, v11
	v_mul_f32_e32 v17, v16, v11
	v_fma_f32 v18, -v10, v17, v16
	v_fmac_f32_e32 v17, v18, v11
	v_fma_f32 v10, -v10, v17, v16
	v_div_fmas_f32 v10, v10, v11, v17
	v_div_fixup_f32 v10, v10, -v9, v8
	v_fma_f32 v11, v8, v10, -v9
	v_div_scale_f32 v16, s[44:45], v11, v11, 1.0
	v_rcp_f32_e32 v17, v16
	s_mov_b64 s[44:45], 0
	v_fma_f32 v18, -v16, v17, 1.0
	v_fmac_f32_e32 v17, v18, v17
	v_div_scale_f32 v18, vcc, 1.0, v11, 1.0
	v_mul_f32_e32 v19, v18, v17
	v_fma_f32 v20, -v16, v19, v18
	v_fmac_f32_e32 v19, v20, v17
	v_fma_f32 v16, -v16, v19, v18
	v_div_fmas_f32 v16, v16, v17, v19
	v_div_fixup_f32 v16, v16, v11, 1.0
	s_waitcnt lgkmcnt(0)
	v_pk_fma_f32 v[18:19], v[10:11], v[6:7], v[6:7] op_sel:[0,0,1] op_sel_hi:[1,1,0]
	v_pk_fma_f32 v[10:11], v[10:11], v[6:7], v[6:7] op_sel:[0,0,1] op_sel_hi:[0,1,0] neg_lo:[0,0,1] neg_hi:[0,0,1]
	v_mov_b32_e32 v19, v11
	v_pk_mul_f32 v[10:11], v[16:17], v[18:19] op_sel_hi:[0,1]
.LBB4_14:                               ;   in Loop: Header=BB4_10 Depth=2
	s_andn2_b64 vcc, exec, s[44:45]
	s_cbranch_vccnz .LBB4_16
; %bb.15:                               ;   in Loop: Header=BB4_10 Depth=2
	v_div_scale_f32 v10, s[44:45], v8, v8, -v9
	v_rcp_f32_e32 v11, v10
	v_div_scale_f32 v16, vcc, -v9, v8, -v9
	v_fma_f32 v17, -v10, v11, 1.0
	v_fmac_f32_e32 v11, v17, v11
	v_mul_f32_e32 v17, v16, v11
	v_fma_f32 v18, -v10, v17, v16
	v_fmac_f32_e32 v17, v18, v11
	v_fma_f32 v10, -v10, v17, v16
	v_div_fmas_f32 v10, v10, v11, v17
	v_div_fixup_f32 v10, v10, v8, -v9
	v_fma_f32 v8, -v9, v10, v8
	v_div_scale_f32 v9, s[44:45], v8, v8, 1.0
	v_rcp_f32_e32 v11, v9
	s_nop 0
	v_fma_f32 v16, -v9, v11, 1.0
	v_fmac_f32_e32 v11, v16, v11
	v_div_scale_f32 v16, vcc, 1.0, v8, 1.0
	v_mul_f32_e32 v17, v16, v11
	v_fma_f32 v18, -v9, v17, v16
	v_fmac_f32_e32 v17, v18, v11
	v_fma_f32 v9, -v9, v17, v16
	v_div_fmas_f32 v9, v9, v11, v17
	s_waitcnt lgkmcnt(0)
	v_pk_fma_f32 v[16:17], v[10:11], v[6:7], v[6:7] op_sel:[0,1,0] op_sel_hi:[1,0,1]
	v_pk_fma_f32 v[6:7], v[10:11], v[6:7], v[6:7] op_sel:[0,1,0] op_sel_hi:[0,0,1] neg_lo:[1,0,0] neg_hi:[1,0,0]
	v_div_fixup_f32 v8, v9, v8, 1.0
	v_mov_b32_e32 v17, v7
	v_pk_mul_f32 v[10:11], v[8:9], v[16:17] op_sel_hi:[0,1]
.LBB4_16:                               ;   in Loop: Header=BB4_10 Depth=2
	ds_write_b64 v1, v[10:11]
.LBB4_17:                               ;   in Loop: Header=BB4_10 Depth=2
	s_or_b64 exec, exec, s[2:3]
	v_cmp_gt_u32_e32 vcc, s33, v0
	v_cmp_le_i32_e64 s[2:3], s48, v15
	s_and_b64 s[44:45], s[42:43], vcc
	s_and_b64 s[44:45], s[44:45], s[2:3]
	s_waitcnt lgkmcnt(0)
	s_barrier
	s_and_saveexec_b64 s[2:3], s[44:45]
	s_cbranch_execz .LBB4_8
; %bb.18:                               ;   in Loop: Header=BB4_10 Depth=2
	v_lshl_add_u64 v[6:7], v[2:3], 3, v[4:5]
	global_load_dwordx2 v[6:7], v[6:7], off
	v_mov_b32_e32 v2, s47
	ds_read_b64 v[8:9], v2
	ds_read_b64 v[10:11], v1
	s_waitcnt vmcnt(0) lgkmcnt(1)
	v_pk_mul_f32 v[16:17], v[6:7], v[8:9] op_sel:[1,1] op_sel_hi:[1,0]
	s_nop 0
	v_pk_fma_f32 v[18:19], v[6:7], v[8:9], v[16:17]
	v_pk_fma_f32 v[6:7], v[6:7], v[8:9], v[16:17] op_sel_hi:[0,1,1] neg_lo:[0,0,1] neg_hi:[0,0,1]
	v_mov_b32_e32 v19, v7
	s_waitcnt lgkmcnt(0)
	v_pk_add_f32 v[6:7], v[10:11], v[18:19] neg_lo:[0,1] neg_hi:[0,1]
	ds_write_b64 v1, v[6:7]
	s_branch .LBB4_8
.LBB4_19:                               ;   in Loop: Header=BB4_5 Depth=1
	s_add_i32 s33, s46, 0xfffffe00
	s_cmp_lt_i32 s46, 1
	s_cselect_b64 s[2:3], -1, 0
	s_and_b64 vcc, exec, s[2:3]
	s_waitcnt lgkmcnt(0)
	s_barrier
	s_cbranch_vccnz .LBB4_51
; %bb.20:                               ;   in Loop: Header=BB4_5 Depth=1
	v_mad_i64_i32 v[4:5], s[42:43], v13, -8, s[14:15]
	s_mov_b64 s[42:43], 0
	v_mov_b32_e32 v10, v13
	v_mov_b32_e32 v11, v0
	s_mov_b32 s52, s33
                                        ; implicit-def: $sgpr44_sgpr45
	s_branch .LBB4_23
.LBB4_21:                               ;   in Loop: Header=BB4_23 Depth=2
	v_mad_u64_u32 v[8:9], s[48:49], s16, v15, 0
	v_mov_b32_e32 v2, v9
	v_mad_u64_u32 v[16:17], s[48:49], s17, v15, v[2:3]
	v_mov_b32_e32 v9, v16
	v_lshl_add_u64 v[8:9], v[8:9], 3, s[10:11]
	global_load_dwordx2 v[16:17], v[8:9], off
	s_add_i32 s50, s52, 0xfffffe00
	s_cmp_lt_i32 s52, 1
	s_cselect_b64 s[48:49], -1, 0
	s_andn2_b64 s[44:45], s[44:45], exec
	s_and_b64 s[48:49], s[48:49], exec
	v_lshl_add_u64 v[4:5], v[4:5], 0, s[40:41]
	v_add_u32_e32 v10, 0xfffffe00, v10
	s_or_b64 s[44:45], s[44:45], s[48:49]
	s_mov_b32 s52, s50
	s_waitcnt vmcnt(0)
	v_pk_add_f32 v[6:7], v[16:17], v[6:7] neg_lo:[0,1] neg_hi:[0,1]
	global_store_dwordx2 v[8:9], v[6:7], off
.LBB4_22:                               ;   in Loop: Header=BB4_23 Depth=2
	s_or_b64 exec, exec, s[46:47]
	s_and_b64 s[46:47], exec, s[44:45]
	s_or_b64 s[42:43], s[46:47], s[42:43]
	s_andn2_b64 exec, exec, s[42:43]
	s_cbranch_execz .LBB4_50
.LBB4_23:                               ;   Parent Loop BB4_5 Depth=1
                                        ; =>  This Loop Header: Depth=2
                                        ;       Child Loop BB4_26 Depth 3
	v_add_u32_e32 v15, s52, v0
	v_cmp_lt_i32_e32 vcc, -1, v15
	s_or_b64 s[44:45], s[44:45], exec
	s_and_saveexec_b64 s[46:47], vcc
	s_cbranch_execz .LBB4_22
; %bb.24:                               ;   in Loop: Header=BB4_23 Depth=2
	v_mad_u64_u32 v[8:9], s[48:49], s18, v10, v[4:5]
	v_mov_b32_e32 v2, v9
	v_mad_u64_u32 v[6:7], s[48:49], s19, v10, v[2:3]
	v_mov_b32_e32 v2, v3
	v_mov_b32_e32 v9, v6
	v_add_u32_e32 v16, s22, v15
	v_add_u32_e32 v17, 0xfffffdfd, v11
	;; [unrolled: 1-line block ×5, first 2 shown]
	s_mov_b32 s53, 0
	s_movk_i32 s54, 0x3000
	v_mov_b64_e32 v[6:7], v[2:3]
	s_branch .LBB4_26
.LBB4_25:                               ;   in Loop: Header=BB4_26 Depth=3
	s_or_b64 exec, exec, s[48:49]
	s_add_i32 s53, s53, 4
	s_add_i32 s54, s54, 32
	s_cmpk_eq_i32 s53, 0x200
	v_lshl_add_u64 v[8:9], v[8:9], 0, 32
	s_cbranch_scc1 .LBB4_21
.LBB4_26:                               ;   Parent Loop BB4_5 Depth=1
                                        ;     Parent Loop BB4_23 Depth=2
                                        ; =>    This Inner Loop Header: Depth=3
	v_cmp_ne_u32_e32 vcc, s53, v11
	s_add_i32 s55, s23, s53
	s_or_b64 s[48:49], s[38:39], vcc
	s_and_saveexec_b64 s[50:51], s[48:49]
	s_xor_b64 s[48:49], exec, s[50:51]
	s_cbranch_execz .LBB4_30
; %bb.27:                               ;   in Loop: Header=BB4_26 Depth=3
	s_add_i32 s50, s55, 0xfffffe00
	v_cmp_le_i32_e32 vcc, s50, v16
	s_and_saveexec_b64 s[50:51], vcc
	s_cbranch_execz .LBB4_29
; %bb.28:                               ;   in Loop: Header=BB4_26 Depth=3
	global_load_dwordx2 v[20:21], v[8:9], off
	v_mov_b32_e32 v2, s54
	ds_read_b64 v[22:23], v2
	s_waitcnt vmcnt(0) lgkmcnt(0)
	v_pk_mul_f32 v[24:25], v[20:21], v[22:23] op_sel:[1,1] op_sel_hi:[1,0]
	s_nop 0
	v_pk_fma_f32 v[26:27], v[20:21], v[22:23], v[24:25]
	v_pk_fma_f32 v[20:21], v[20:21], v[22:23], v[24:25] op_sel_hi:[0,1,1] neg_lo:[0,0,1] neg_hi:[0,0,1]
	v_mov_b32_e32 v27, v21
	v_pk_add_f32 v[6:7], v[6:7], v[26:27]
.LBB4_29:                               ;   in Loop: Header=BB4_26 Depth=3
	s_or_b64 exec, exec, s[50:51]
.LBB4_30:                               ;   in Loop: Header=BB4_26 Depth=3
	s_andn2_saveexec_b64 s[48:49], s[48:49]
	s_cbranch_execz .LBB4_32
; %bb.31:                               ;   in Loop: Header=BB4_26 Depth=3
	v_mov_b32_e32 v2, s54
	ds_read_b64 v[20:21], v2
	s_waitcnt lgkmcnt(0)
	v_pk_add_f32 v[6:7], v[6:7], v[20:21]
.LBB4_32:                               ;   in Loop: Header=BB4_26 Depth=3
	s_or_b64 exec, exec, s[48:49]
	v_cmp_ne_u32_e32 vcc, s53, v19
	s_or_b64 s[48:49], s[38:39], vcc
	s_and_saveexec_b64 s[50:51], s[48:49]
	s_xor_b64 s[48:49], exec, s[50:51]
	s_cbranch_execz .LBB4_36
; %bb.33:                               ;   in Loop: Header=BB4_26 Depth=3
	s_add_i32 s50, s55, 0xfffffe01
	v_cmp_le_i32_e32 vcc, s50, v16
	s_and_saveexec_b64 s[50:51], vcc
	s_cbranch_execz .LBB4_35
; %bb.34:                               ;   in Loop: Header=BB4_26 Depth=3
	global_load_dwordx2 v[20:21], v[8:9], off offset:8
	v_mov_b32_e32 v2, s54
	ds_read_b64 v[22:23], v2 offset:8
	s_waitcnt vmcnt(0) lgkmcnt(0)
	v_pk_mul_f32 v[24:25], v[20:21], v[22:23] op_sel:[1,1] op_sel_hi:[1,0]
	s_nop 0
	v_pk_fma_f32 v[26:27], v[20:21], v[22:23], v[24:25]
	v_pk_fma_f32 v[20:21], v[20:21], v[22:23], v[24:25] op_sel_hi:[0,1,1] neg_lo:[0,0,1] neg_hi:[0,0,1]
	v_mov_b32_e32 v27, v21
	v_pk_add_f32 v[6:7], v[6:7], v[26:27]
.LBB4_35:                               ;   in Loop: Header=BB4_26 Depth=3
	s_or_b64 exec, exec, s[50:51]
.LBB4_36:                               ;   in Loop: Header=BB4_26 Depth=3
	s_andn2_saveexec_b64 s[48:49], s[48:49]
	s_cbranch_execz .LBB4_38
; %bb.37:                               ;   in Loop: Header=BB4_26 Depth=3
	v_mov_b32_e32 v2, s54
	ds_read_b64 v[20:21], v2 offset:8
	s_waitcnt lgkmcnt(0)
	v_pk_add_f32 v[6:7], v[6:7], v[20:21]
.LBB4_38:                               ;   in Loop: Header=BB4_26 Depth=3
	s_or_b64 exec, exec, s[48:49]
	v_cmp_ne_u32_e32 vcc, s53, v18
	s_or_b64 s[48:49], s[38:39], vcc
	s_and_saveexec_b64 s[50:51], s[48:49]
	s_xor_b64 s[48:49], exec, s[50:51]
	s_cbranch_execz .LBB4_42
; %bb.39:                               ;   in Loop: Header=BB4_26 Depth=3
	s_add_i32 s50, s55, 0xfffffe02
	v_cmp_le_i32_e32 vcc, s50, v16
	s_and_saveexec_b64 s[50:51], vcc
	s_cbranch_execz .LBB4_41
; %bb.40:                               ;   in Loop: Header=BB4_26 Depth=3
	global_load_dwordx2 v[20:21], v[8:9], off offset:16
	v_mov_b32_e32 v2, s54
	ds_read_b64 v[22:23], v2 offset:16
	s_waitcnt vmcnt(0) lgkmcnt(0)
	v_pk_mul_f32 v[24:25], v[20:21], v[22:23] op_sel:[1,1] op_sel_hi:[1,0]
	s_nop 0
	v_pk_fma_f32 v[26:27], v[20:21], v[22:23], v[24:25]
	v_pk_fma_f32 v[20:21], v[20:21], v[22:23], v[24:25] op_sel_hi:[0,1,1] neg_lo:[0,0,1] neg_hi:[0,0,1]
	v_mov_b32_e32 v27, v21
	v_pk_add_f32 v[6:7], v[6:7], v[26:27]
.LBB4_41:                               ;   in Loop: Header=BB4_26 Depth=3
	s_or_b64 exec, exec, s[50:51]
.LBB4_42:                               ;   in Loop: Header=BB4_26 Depth=3
	s_andn2_saveexec_b64 s[48:49], s[48:49]
	s_cbranch_execz .LBB4_44
; %bb.43:                               ;   in Loop: Header=BB4_26 Depth=3
	v_mov_b32_e32 v2, s54
	ds_read_b64 v[20:21], v2 offset:16
	s_waitcnt lgkmcnt(0)
	v_pk_add_f32 v[6:7], v[6:7], v[20:21]
.LBB4_44:                               ;   in Loop: Header=BB4_26 Depth=3
	s_or_b64 exec, exec, s[48:49]
	v_cmp_ne_u32_e32 vcc, s53, v17
	s_or_b64 s[48:49], s[38:39], vcc
	s_and_saveexec_b64 s[50:51], s[48:49]
	s_xor_b64 s[48:49], exec, s[50:51]
	s_cbranch_execz .LBB4_48
; %bb.45:                               ;   in Loop: Header=BB4_26 Depth=3
	s_addk_i32 s55, 0xfe03
	v_cmp_le_i32_e32 vcc, s55, v16
	s_and_saveexec_b64 s[50:51], vcc
	s_cbranch_execz .LBB4_47
; %bb.46:                               ;   in Loop: Header=BB4_26 Depth=3
	global_load_dwordx2 v[20:21], v[8:9], off offset:24
	v_mov_b32_e32 v2, s54
	ds_read_b64 v[22:23], v2 offset:24
	s_waitcnt vmcnt(0) lgkmcnt(0)
	v_pk_mul_f32 v[24:25], v[20:21], v[22:23] op_sel:[1,1] op_sel_hi:[1,0]
	s_nop 0
	v_pk_fma_f32 v[26:27], v[20:21], v[22:23], v[24:25]
	v_pk_fma_f32 v[20:21], v[20:21], v[22:23], v[24:25] op_sel_hi:[0,1,1] neg_lo:[0,0,1] neg_hi:[0,0,1]
	v_mov_b32_e32 v27, v21
	v_pk_add_f32 v[6:7], v[6:7], v[26:27]
.LBB4_47:                               ;   in Loop: Header=BB4_26 Depth=3
	s_or_b64 exec, exec, s[50:51]
.LBB4_48:                               ;   in Loop: Header=BB4_26 Depth=3
	s_andn2_saveexec_b64 s[48:49], s[48:49]
	s_cbranch_execz .LBB4_25
; %bb.49:                               ;   in Loop: Header=BB4_26 Depth=3
	v_mov_b32_e32 v2, s54
	ds_read_b64 v[20:21], v2 offset:24
	s_waitcnt lgkmcnt(0)
	v_pk_add_f32 v[6:7], v[6:7], v[20:21]
	s_branch .LBB4_25
.LBB4_50:                               ;   in Loop: Header=BB4_5 Depth=1
	s_or_b64 exec, exec, s[42:43]
.LBB4_51:                               ;   in Loop: Header=BB4_5 Depth=1
	s_and_saveexec_b64 s[42:43], s[0:1]
	s_cbranch_execz .LBB4_4
; %bb.52:                               ;   in Loop: Header=BB4_5 Depth=1
	v_mad_u64_u32 v[4:5], s[0:1], s16, v14, 0
	ds_read_b64 v[6:7], v1
	v_mov_b32_e32 v2, v5
	v_mad_u64_u32 v[8:9], s[0:1], s17, v14, v[2:3]
	v_mov_b32_e32 v5, v8
	v_lshl_add_u64 v[4:5], v[4:5], 3, s[10:11]
	s_waitcnt lgkmcnt(0)
	global_store_dwordx2 v[4:5], v[6:7], off
	s_branch .LBB4_4
.LBB4_53:
	s_mov_b64 s[0:1], 0
.LBB4_54:
	s_andn2_b64 vcc, exec, s[0:1]
	s_cbranch_vccnz .LBB4_106
; %bb.55:
	s_andn2_b64 vcc, exec, s[12:13]
	s_cbranch_vccnz .LBB4_106
; %bb.56:
	s_ashr_i32 s23, s22, 31
	s_lshl_b64 s[14:15], s[8:9], 3
	s_add_u32 s18, s14, -8
	s_addc_u32 s20, s15, -1
	s_lshl_b64 s[0:1], s[22:23], 3
	s_add_u32 s2, s4, s0
	s_addc_u32 s3, s5, s1
	s_add_u32 s2, s2, s30
	s_addc_u32 s3, s3, s31
	;; [unrolled: 2-line block ×3, first 2 shown]
	v_mov_b64_e32 v[2:3], s[2:3]
	v_mad_u64_u32 v[2:3], s[18:19], s18, v0, v[2:3]
	v_mov_b32_e32 v4, v3
	v_mad_u64_u32 v[4:5], s[18:19], s20, v0, v[4:5]
	s_lshl_b64 s[18:19], s[8:9], 12
	s_add_u32 s20, s28, s30
	s_addc_u32 s23, s29, s31
	s_add_u32 s0, s20, s0
	s_addc_u32 s1, s23, s1
	s_add_u32 s38, s4, s0
	v_or_b32_e32 v18, 0x200, v0
	v_mov_b32_e32 v3, v4
	s_addc_u32 s39, s5, s1
	v_mad_u64_u32 v[4:5], s[0:1], s8, v18, 0
	v_mov_b32_e32 v6, v5
	v_mad_u64_u32 v[6:7], s[0:1], s9, v18, v[6:7]
	s_add_u32 s40, s18, 0x1000
	v_mov_b32_e32 v5, v6
	s_addc_u32 s41, s19, 0
	v_mov_b32_e32 v1, 0x1000
	v_lshl_add_u64 v[4:5], v[4:5], 3, s[2:3]
	s_add_u32 s42, s18, 0xfffff000
	v_lshl_or_b32 v1, v0, 3, v1
	v_lshl_add_u64 v[2:3], v[2:3], 0, 4
	v_lshl_add_u64 v[4:5], v[4:5], 0, 16
	s_addc_u32 s43, s19, -1
	s_mov_b32 s20, 0
	s_xor_b64 s[44:45], s[24:25], -1
	v_mov_b32_e32 v6, 0
	s_branch .LBB4_58
.LBB4_57:                               ;   in Loop: Header=BB4_58 Depth=1
	s_or_b64 exec, exec, s[46:47]
	s_add_u32 s38, s38, s18
	v_lshl_add_u64 v[2:3], v[2:3], 0, s[18:19]
	s_addc_u32 s39, s39, s19
	v_lshl_add_u64 v[4:5], v[4:5], 0, s[40:41]
	v_add_u32_e32 v18, 0x200, v18
	s_and_b64 vcc, exec, s[2:3]
	s_mov_b32 s20, s23
	s_barrier
	s_cbranch_vccnz .LBB4_106
.LBB4_58:                               ; =>This Loop Header: Depth=1
                                        ;     Child Loop BB4_63 Depth 2
                                        ;     Child Loop BB4_76 Depth 2
                                        ;       Child Loop BB4_79 Depth 3
	v_add_u32_e32 v19, s20, v0
	v_cmp_le_i32_e32 vcc, s21, v19
	v_cmp_gt_i32_e64 s[0:1], s21, v19
	s_and_saveexec_b64 s[2:3], s[0:1]
	s_cbranch_execz .LBB4_60
; %bb.59:                               ;   in Loop: Header=BB4_58 Depth=1
	v_mad_u64_u32 v[8:9], s[46:47], s16, v19, 0
	v_mov_b32_e32 v10, v9
	v_mad_u64_u32 v[10:11], s[46:47], s17, v19, v[10:11]
	v_mov_b32_e32 v9, v10
	v_lshl_add_u64 v[8:9], v[8:9], 3, s[10:11]
	global_load_dwordx2 v[8:9], v[8:9], off
	s_waitcnt vmcnt(0)
	ds_write_b64 v1, v[8:9]
.LBB4_60:                               ;   in Loop: Header=BB4_58 Depth=1
	s_or_b64 exec, exec, s[2:3]
	v_subrev_u32_e32 v7, s22, v19
	s_mov_b32 s23, 0
	s_movk_i32 s33, 0x1000
	v_mov_b64_e32 v[8:9], s[38:39]
	s_xor_b64 s[46:47], vcc, -1
	v_mov_b64_e32 v[10:11], v[2:3]
	s_waitcnt lgkmcnt(0)
	s_barrier
	s_branch .LBB4_63
.LBB4_61:                               ;   in Loop: Header=BB4_63 Depth=2
	s_or_b64 exec, exec, s[2:3]
	s_add_i32 s23, s23, 1
	s_add_i32 s33, s33, 8
	s_cmpk_eq_i32 s23, 0x200
	v_lshl_add_u64 v[10:11], v[10:11], 0, 8
	v_lshl_add_u64 v[8:9], v[8:9], 0, s[14:15]
	s_cselect_b64 s[2:3], -1, 0
.LBB4_62:                               ;   in Loop: Header=BB4_63 Depth=2
	s_and_b64 vcc, exec, s[2:3]
	s_cbranch_vccnz .LBB4_72
.LBB4_63:                               ;   Parent Loop BB4_58 Depth=1
                                        ; =>  This Inner Loop Header: Depth=2
	s_add_i32 s50, s20, s23
	s_cmp_ge_i32 s50, s21
	s_mov_b64 s[2:3], -1
	s_cbranch_scc1 .LBB4_62
; %bb.64:                               ;   in Loop: Header=BB4_63 Depth=2
	v_cmp_eq_u32_e32 vcc, s23, v0
	s_and_b64 s[48:49], s[44:45], vcc
	s_and_saveexec_b64 s[2:3], s[48:49]
	s_cbranch_execz .LBB4_70
; %bb.65:                               ;   in Loop: Header=BB4_63 Depth=2
	global_load_dwordx2 v[14:15], v[8:9], off
	ds_read_b64 v[12:13], v1
	s_mov_b64 s[48:49], -1
                                        ; implicit-def: $vgpr16_vgpr17
	s_waitcnt vmcnt(0)
	v_cmp_ngt_f32_e64 s[52:53], |v14|, |v15|
	s_and_b64 vcc, exec, s[52:53]
	s_cbranch_vccz .LBB4_67
; %bb.66:                               ;   in Loop: Header=BB4_63 Depth=2
	v_div_scale_f32 v16, s[48:49], -v15, -v15, v14
	v_rcp_f32_e32 v17, v16
	v_div_scale_f32 v20, vcc, v14, -v15, v14
	v_fma_f32 v21, -v16, v17, 1.0
	v_fmac_f32_e32 v17, v21, v17
	v_mul_f32_e32 v21, v20, v17
	v_fma_f32 v22, -v16, v21, v20
	v_fmac_f32_e32 v21, v22, v17
	v_fma_f32 v16, -v16, v21, v20
	v_div_fmas_f32 v16, v16, v17, v21
	v_div_fixup_f32 v16, v16, -v15, v14
	v_fma_f32 v17, v14, v16, -v15
	v_div_scale_f32 v20, s[48:49], v17, v17, 1.0
	v_rcp_f32_e32 v21, v20
	s_mov_b64 s[48:49], 0
	v_fma_f32 v22, -v20, v21, 1.0
	v_fmac_f32_e32 v21, v22, v21
	v_div_scale_f32 v22, vcc, 1.0, v17, 1.0
	v_mul_f32_e32 v23, v22, v21
	v_fma_f32 v24, -v20, v23, v22
	v_fmac_f32_e32 v23, v24, v21
	v_fma_f32 v20, -v20, v23, v22
	v_div_fmas_f32 v20, v20, v21, v23
	v_div_fixup_f32 v20, v20, v17, 1.0
	s_waitcnt lgkmcnt(0)
	v_pk_fma_f32 v[22:23], v[16:17], v[12:13], v[12:13] op_sel:[0,0,1] op_sel_hi:[1,1,0]
	v_pk_fma_f32 v[16:17], v[16:17], v[12:13], v[12:13] op_sel:[0,0,1] op_sel_hi:[0,1,0] neg_lo:[0,0,1] neg_hi:[0,0,1]
	v_mov_b32_e32 v23, v17
	v_pk_mul_f32 v[16:17], v[20:21], v[22:23] op_sel_hi:[0,1]
.LBB4_67:                               ;   in Loop: Header=BB4_63 Depth=2
	s_andn2_b64 vcc, exec, s[48:49]
	s_cbranch_vccnz .LBB4_69
; %bb.68:                               ;   in Loop: Header=BB4_63 Depth=2
	v_div_scale_f32 v16, s[48:49], v14, v14, -v15
	v_rcp_f32_e32 v17, v16
	v_div_scale_f32 v20, vcc, -v15, v14, -v15
	v_fma_f32 v21, -v16, v17, 1.0
	v_fmac_f32_e32 v17, v21, v17
	v_mul_f32_e32 v21, v20, v17
	v_fma_f32 v22, -v16, v21, v20
	v_fmac_f32_e32 v21, v22, v17
	v_fma_f32 v16, -v16, v21, v20
	v_div_fmas_f32 v16, v16, v17, v21
	v_div_fixup_f32 v16, v16, v14, -v15
	v_fma_f32 v14, -v15, v16, v14
	v_div_scale_f32 v15, s[48:49], v14, v14, 1.0
	v_rcp_f32_e32 v17, v15
	s_nop 0
	v_fma_f32 v20, -v15, v17, 1.0
	v_fmac_f32_e32 v17, v20, v17
	v_div_scale_f32 v20, vcc, 1.0, v14, 1.0
	v_mul_f32_e32 v21, v20, v17
	v_fma_f32 v22, -v15, v21, v20
	v_fmac_f32_e32 v21, v22, v17
	v_fma_f32 v15, -v15, v21, v20
	v_div_fmas_f32 v15, v15, v17, v21
	s_waitcnt lgkmcnt(0)
	v_pk_fma_f32 v[20:21], v[16:17], v[12:13], v[12:13] op_sel:[0,1,0] op_sel_hi:[1,0,1]
	v_pk_fma_f32 v[12:13], v[16:17], v[12:13], v[12:13] op_sel:[0,1,0] op_sel_hi:[0,0,1] neg_lo:[1,0,0] neg_hi:[1,0,0]
	v_div_fixup_f32 v14, v15, v14, 1.0
	v_mov_b32_e32 v21, v13
	v_pk_mul_f32 v[16:17], v[14:15], v[20:21] op_sel_hi:[0,1]
.LBB4_69:                               ;   in Loop: Header=BB4_63 Depth=2
	ds_write_b64 v1, v[16:17]
.LBB4_70:                               ;   in Loop: Header=BB4_63 Depth=2
	s_or_b64 exec, exec, s[2:3]
	v_cmp_lt_u32_e32 vcc, s23, v0
	v_cmp_ge_i32_e64 s[2:3], s50, v7
	s_and_b64 s[48:49], s[46:47], vcc
	s_and_b64 s[48:49], s[48:49], s[2:3]
	s_waitcnt lgkmcnt(0)
	s_barrier
	s_and_saveexec_b64 s[2:3], s[48:49]
	s_cbranch_execz .LBB4_61
; %bb.71:                               ;   in Loop: Header=BB4_63 Depth=2
	global_load_dwordx2 v[12:13], v[10:11], off offset:-4
	v_mov_b32_e32 v14, s33
	ds_read_b64 v[14:15], v14
	ds_read_b64 v[16:17], v1
	s_waitcnt vmcnt(0) lgkmcnt(1)
	v_pk_mul_f32 v[20:21], v[12:13], v[14:15] op_sel:[1,1] op_sel_hi:[1,0]
	s_nop 0
	v_pk_fma_f32 v[22:23], v[12:13], v[14:15], v[20:21]
	v_pk_fma_f32 v[12:13], v[12:13], v[14:15], v[20:21] op_sel_hi:[0,1,1] neg_lo:[0,0,1] neg_hi:[0,0,1]
	v_mov_b32_e32 v23, v13
	s_waitcnt lgkmcnt(0)
	v_pk_add_f32 v[12:13], v[16:17], v[22:23] neg_lo:[0,1] neg_hi:[0,1]
	ds_write_b64 v1, v[12:13]
	s_branch .LBB4_61
.LBB4_72:                               ;   in Loop: Header=BB4_58 Depth=1
	s_add_i32 s23, s20, 0x200
	s_cmp_ge_i32 s23, s21
	s_cselect_b64 s[2:3], -1, 0
	s_and_b64 vcc, exec, s[2:3]
	s_waitcnt lgkmcnt(0)
	s_barrier
	s_cbranch_vccnz .LBB4_104
; %bb.73:                               ;   in Loop: Header=BB4_58 Depth=1
	v_mad_i64_i32 v[8:9], s[46:47], v18, -8, v[4:5]
	s_mov_b64 s[46:47], 0
	v_mov_b32_e32 v14, v0
	s_mov_b32 s33, s23
                                        ; implicit-def: $sgpr48_sgpr49
	s_branch .LBB4_76
.LBB4_74:                               ;   in Loop: Header=BB4_76 Depth=2
	v_mad_u64_u32 v[12:13], s[52:53], s16, v15, 0
	v_mov_b32_e32 v16, v13
	v_mad_u64_u32 v[16:17], s[52:53], s17, v15, v[16:17]
	v_mov_b32_e32 v13, v16
	v_lshl_add_u64 v[12:13], v[12:13], 3, s[10:11]
	global_load_dwordx2 v[16:17], v[12:13], off
	s_addk_i32 s33, 0x200
	s_cmp_ge_i32 s33, s21
	s_cselect_b64 s[52:53], -1, 0
	s_andn2_b64 s[48:49], s[48:49], exec
	s_and_b64 s[52:53], s[52:53], exec
	v_lshl_add_u64 v[8:9], v[8:9], 0, s[42:43]
	s_or_b64 s[48:49], s[48:49], s[52:53]
	s_waitcnt vmcnt(0)
	v_pk_add_f32 v[10:11], v[16:17], v[10:11] neg_lo:[0,1] neg_hi:[0,1]
	global_store_dwordx2 v[12:13], v[10:11], off
.LBB4_75:                               ;   in Loop: Header=BB4_76 Depth=2
	s_or_b64 exec, exec, s[50:51]
	s_and_b64 s[50:51], exec, s[48:49]
	s_or_b64 s[46:47], s[50:51], s[46:47]
	s_andn2_b64 exec, exec, s[46:47]
	s_cbranch_execz .LBB4_103
.LBB4_76:                               ;   Parent Loop BB4_58 Depth=1
                                        ; =>  This Loop Header: Depth=2
                                        ;       Child Loop BB4_79 Depth 3
	v_add_u32_e32 v15, s33, v0
	v_cmp_gt_i32_e32 vcc, s21, v15
	s_or_b64 s[48:49], s[48:49], exec
	s_and_saveexec_b64 s[50:51], vcc
	s_cbranch_execz .LBB4_75
; %bb.77:                               ;   in Loop: Header=BB4_76 Depth=2
	v_mov_b32_e32 v7, v6
	v_subrev_u32_e32 v16, s22, v15
	v_add_u32_e32 v17, 0x1fd, v14
	v_add_u32_e32 v20, 0x1fe, v14
	;; [unrolled: 1-line block ×4, first 2 shown]
	s_mov_b32 s56, 0
	s_movk_i32 s57, 0x1000
	v_mov_b64_e32 v[12:13], v[8:9]
	v_mov_b64_e32 v[10:11], v[6:7]
	s_branch .LBB4_79
.LBB4_78:                               ;   in Loop: Header=BB4_79 Depth=3
	s_or_b64 exec, exec, s[52:53]
	s_add_i32 s56, s56, 4
	s_add_i32 s57, s57, 32
	s_cmpk_eq_i32 s56, 0x200
	v_lshl_add_u64 v[12:13], v[12:13], 0, 32
	s_cbranch_scc1 .LBB4_74
.LBB4_79:                               ;   Parent Loop BB4_58 Depth=1
                                        ;     Parent Loop BB4_76 Depth=2
                                        ; =>    This Inner Loop Header: Depth=3
	v_cmp_ne_u32_e32 vcc, s56, v14
	s_add_i32 s58, s20, s56
	s_or_b64 s[52:53], s[44:45], vcc
	s_and_saveexec_b64 s[54:55], s[52:53]
	s_xor_b64 s[52:53], exec, s[54:55]
	s_cbranch_execz .LBB4_83
; %bb.80:                               ;   in Loop: Header=BB4_79 Depth=3
	s_cmp_lt_i32 s58, s21
	s_cselect_b64 s[54:55], -1, 0
	v_cmp_ge_i32_e32 vcc, s58, v16
	s_and_b64 s[60:61], s[54:55], vcc
	s_and_saveexec_b64 s[54:55], s[60:61]
	s_cbranch_execz .LBB4_82
; %bb.81:                               ;   in Loop: Header=BB4_79 Depth=3
	global_load_dwordx2 v[22:23], v[12:13], off offset:-16
	v_mov_b32_e32 v7, s57
	ds_read_b64 v[24:25], v7
	s_waitcnt vmcnt(0) lgkmcnt(0)
	v_pk_mul_f32 v[26:27], v[22:23], v[24:25] op_sel:[1,1] op_sel_hi:[1,0]
	s_nop 0
	v_pk_fma_f32 v[28:29], v[22:23], v[24:25], v[26:27]
	v_pk_fma_f32 v[22:23], v[22:23], v[24:25], v[26:27] op_sel_hi:[0,1,1] neg_lo:[0,0,1] neg_hi:[0,0,1]
	v_mov_b32_e32 v29, v23
	v_pk_add_f32 v[10:11], v[10:11], v[28:29]
.LBB4_82:                               ;   in Loop: Header=BB4_79 Depth=3
	s_or_b64 exec, exec, s[54:55]
.LBB4_83:                               ;   in Loop: Header=BB4_79 Depth=3
	s_andn2_saveexec_b64 s[52:53], s[52:53]
	s_cbranch_execz .LBB4_85
; %bb.84:                               ;   in Loop: Header=BB4_79 Depth=3
	v_mov_b32_e32 v7, s57
	ds_read_b64 v[22:23], v7
	s_waitcnt lgkmcnt(0)
	v_pk_add_f32 v[10:11], v[10:11], v[22:23]
.LBB4_85:                               ;   in Loop: Header=BB4_79 Depth=3
	s_or_b64 exec, exec, s[52:53]
	v_cmp_ne_u32_e32 vcc, s56, v21
	s_or_b64 s[52:53], s[44:45], vcc
	s_and_saveexec_b64 s[54:55], s[52:53]
	s_xor_b64 s[52:53], exec, s[54:55]
	s_cbranch_execz .LBB4_89
; %bb.86:                               ;   in Loop: Header=BB4_79 Depth=3
	s_add_i32 s59, s58, 1
	s_cmp_lt_i32 s59, s21
	s_cselect_b64 s[54:55], -1, 0
	v_cmp_ge_i32_e32 vcc, s59, v16
	s_and_b64 s[60:61], s[54:55], vcc
	s_and_saveexec_b64 s[54:55], s[60:61]
	s_cbranch_execz .LBB4_88
; %bb.87:                               ;   in Loop: Header=BB4_79 Depth=3
	global_load_dwordx2 v[22:23], v[12:13], off offset:-8
	v_mov_b32_e32 v7, s57
	ds_read_b64 v[24:25], v7 offset:8
	s_waitcnt vmcnt(0) lgkmcnt(0)
	v_pk_mul_f32 v[26:27], v[22:23], v[24:25] op_sel:[1,1] op_sel_hi:[1,0]
	s_nop 0
	v_pk_fma_f32 v[28:29], v[22:23], v[24:25], v[26:27]
	v_pk_fma_f32 v[22:23], v[22:23], v[24:25], v[26:27] op_sel_hi:[0,1,1] neg_lo:[0,0,1] neg_hi:[0,0,1]
	v_mov_b32_e32 v29, v23
	v_pk_add_f32 v[10:11], v[10:11], v[28:29]
.LBB4_88:                               ;   in Loop: Header=BB4_79 Depth=3
	s_or_b64 exec, exec, s[54:55]
.LBB4_89:                               ;   in Loop: Header=BB4_79 Depth=3
	s_andn2_saveexec_b64 s[52:53], s[52:53]
	s_cbranch_execz .LBB4_91
; %bb.90:                               ;   in Loop: Header=BB4_79 Depth=3
	v_mov_b32_e32 v7, s57
	ds_read_b64 v[22:23], v7 offset:8
	s_waitcnt lgkmcnt(0)
	v_pk_add_f32 v[10:11], v[10:11], v[22:23]
.LBB4_91:                               ;   in Loop: Header=BB4_79 Depth=3
	s_or_b64 exec, exec, s[52:53]
	v_cmp_ne_u32_e32 vcc, s56, v20
	s_or_b64 s[52:53], s[44:45], vcc
	s_and_saveexec_b64 s[54:55], s[52:53]
	s_xor_b64 s[52:53], exec, s[54:55]
	s_cbranch_execz .LBB4_95
; %bb.92:                               ;   in Loop: Header=BB4_79 Depth=3
	s_add_i32 s59, s58, 2
	s_cmp_lt_i32 s59, s21
	s_cselect_b64 s[54:55], -1, 0
	v_cmp_ge_i32_e32 vcc, s59, v16
	s_and_b64 s[60:61], s[54:55], vcc
	s_and_saveexec_b64 s[54:55], s[60:61]
	s_cbranch_execz .LBB4_94
; %bb.93:                               ;   in Loop: Header=BB4_79 Depth=3
	global_load_dwordx2 v[22:23], v[12:13], off
	v_mov_b32_e32 v7, s57
	ds_read_b64 v[24:25], v7 offset:16
	s_waitcnt vmcnt(0) lgkmcnt(0)
	v_pk_mul_f32 v[26:27], v[22:23], v[24:25] op_sel:[1,1] op_sel_hi:[1,0]
	s_nop 0
	v_pk_fma_f32 v[28:29], v[22:23], v[24:25], v[26:27]
	v_pk_fma_f32 v[22:23], v[22:23], v[24:25], v[26:27] op_sel_hi:[0,1,1] neg_lo:[0,0,1] neg_hi:[0,0,1]
	v_mov_b32_e32 v29, v23
	v_pk_add_f32 v[10:11], v[10:11], v[28:29]
.LBB4_94:                               ;   in Loop: Header=BB4_79 Depth=3
	s_or_b64 exec, exec, s[54:55]
.LBB4_95:                               ;   in Loop: Header=BB4_79 Depth=3
	s_andn2_saveexec_b64 s[52:53], s[52:53]
	s_cbranch_execz .LBB4_97
; %bb.96:                               ;   in Loop: Header=BB4_79 Depth=3
	v_mov_b32_e32 v7, s57
	ds_read_b64 v[22:23], v7 offset:16
	s_waitcnt lgkmcnt(0)
	v_pk_add_f32 v[10:11], v[10:11], v[22:23]
.LBB4_97:                               ;   in Loop: Header=BB4_79 Depth=3
	s_or_b64 exec, exec, s[52:53]
	v_cmp_ne_u32_e32 vcc, s56, v17
	s_or_b64 s[52:53], s[44:45], vcc
	s_and_saveexec_b64 s[54:55], s[52:53]
	s_xor_b64 s[52:53], exec, s[54:55]
	s_cbranch_execz .LBB4_101
; %bb.98:                               ;   in Loop: Header=BB4_79 Depth=3
	s_add_i32 s58, s58, 3
	s_cmp_lt_i32 s58, s21
	s_cselect_b64 s[54:55], -1, 0
	v_cmp_ge_i32_e32 vcc, s58, v16
	s_and_b64 s[58:59], s[54:55], vcc
	s_and_saveexec_b64 s[54:55], s[58:59]
	s_cbranch_execz .LBB4_100
; %bb.99:                               ;   in Loop: Header=BB4_79 Depth=3
	global_load_dwordx2 v[22:23], v[12:13], off offset:8
	v_mov_b32_e32 v7, s57
	ds_read_b64 v[24:25], v7 offset:24
	s_waitcnt vmcnt(0) lgkmcnt(0)
	v_pk_mul_f32 v[26:27], v[22:23], v[24:25] op_sel:[1,1] op_sel_hi:[1,0]
	s_nop 0
	v_pk_fma_f32 v[28:29], v[22:23], v[24:25], v[26:27]
	v_pk_fma_f32 v[22:23], v[22:23], v[24:25], v[26:27] op_sel_hi:[0,1,1] neg_lo:[0,0,1] neg_hi:[0,0,1]
	v_mov_b32_e32 v29, v23
	v_pk_add_f32 v[10:11], v[10:11], v[28:29]
.LBB4_100:                              ;   in Loop: Header=BB4_79 Depth=3
	s_or_b64 exec, exec, s[54:55]
.LBB4_101:                              ;   in Loop: Header=BB4_79 Depth=3
	s_andn2_saveexec_b64 s[52:53], s[52:53]
	s_cbranch_execz .LBB4_78
; %bb.102:                              ;   in Loop: Header=BB4_79 Depth=3
	v_mov_b32_e32 v7, s57
	ds_read_b64 v[22:23], v7 offset:24
	s_waitcnt lgkmcnt(0)
	v_pk_add_f32 v[10:11], v[10:11], v[22:23]
	s_branch .LBB4_78
.LBB4_103:                              ;   in Loop: Header=BB4_58 Depth=1
	s_or_b64 exec, exec, s[46:47]
.LBB4_104:                              ;   in Loop: Header=BB4_58 Depth=1
	s_and_saveexec_b64 s[46:47], s[0:1]
	s_cbranch_execz .LBB4_57
; %bb.105:                              ;   in Loop: Header=BB4_58 Depth=1
	v_mad_u64_u32 v[8:9], s[0:1], s16, v19, 0
	ds_read_b64 v[12:13], v1
	v_mov_b32_e32 v10, v9
	v_mad_u64_u32 v[10:11], s[0:1], s17, v19, v[10:11]
	v_mov_b32_e32 v9, v10
	v_lshl_add_u64 v[8:9], v[8:9], 3, s[10:11]
	s_waitcnt lgkmcnt(0)
	global_store_dwordx2 v[8:9], v[12:13], off
	s_branch .LBB4_57
.LBB4_106:
	s_mov_b64 s[0:1], 0
.LBB4_107:
	s_andn2_b64 vcc, exec, s[0:1]
	s_cbranch_vccnz .LBB4_189
; %bb.108:
	s_mov_b64 s[0:1], -1
	s_and_b64 vcc, exec, s[36:37]
	s_cbranch_vccz .LBB4_149
; %bb.109:
	s_andn2_b64 vcc, exec, s[12:13]
	s_cbranch_vccnz .LBB4_148
; %bb.110:
	s_lshl_b64 s[14:15], s[8:9], 12
	s_lshl_b64 s[18:19], s[8:9], 3
	s_add_u32 s0, s28, s18
	s_addc_u32 s1, s29, s19
	s_add_u32 s0, s0, s30
	s_addc_u32 s1, s1, s31
	;; [unrolled: 2-line block ×3, first 2 shown]
	s_add_u32 s36, s0, -8
	s_addc_u32 s37, s1, -1
	s_lshl_b64 s[0:1], s[8:9], 4
	s_add_u32 s20, s0, -16
	v_lshlrev_b32_e32 v1, 3, v0
	v_or_b32_e32 v2, 0x200, v0
	s_addc_u32 s23, s1, -1
	s_mov_b32 s33, 0
	s_mov_b64 s[38:39], 0
	s_xor_b64 s[40:41], s[24:25], -1
	v_mov_b32_e32 v5, 0
	s_branch .LBB4_112
.LBB4_111:                              ;   in Loop: Header=BB4_112 Depth=1
	s_or_b64 exec, exec, s[42:43]
	s_add_u32 s34, s34, s14
	s_addc_u32 s35, s35, s15
	s_add_u32 s38, s38, 0xfffffe00
	s_addc_u32 s39, s39, -1
	s_add_u32 s36, s36, s14
	v_add_u32_e32 v2, 0x200, v2
	s_addc_u32 s37, s37, s15
	s_and_b64 vcc, exec, s[2:3]
	s_mov_b32 s33, s60
	s_barrier
	s_cbranch_vccnz .LBB4_148
.LBB4_112:                              ; =>This Loop Header: Depth=1
                                        ;     Child Loop BB4_116 Depth 2
                                        ;     Child Loop BB4_130 Depth 2
                                        ;       Child Loop BB4_133 Depth 3
	v_add_u32_e32 v12, s33, v0
	v_cmp_le_i32_e32 vcc, s21, v12
	v_cmp_gt_i32_e64 s[0:1], s21, v12
	s_and_saveexec_b64 s[2:3], s[0:1]
	s_cbranch_execz .LBB4_114
; %bb.113:                              ;   in Loop: Header=BB4_112 Depth=1
	v_mad_u64_u32 v[6:7], s[42:43], s16, v12, 0
	v_mov_b32_e32 v4, v7
	v_mad_u64_u32 v[8:9], s[42:43], s17, v12, v[4:5]
	v_mov_b32_e32 v7, v8
	v_lshl_add_u64 v[6:7], v[6:7], 3, s[10:11]
	global_load_dwordx2 v[6:7], v[6:7], off
	s_waitcnt vmcnt(0)
	ds_write_b64 v1, v[6:7]
.LBB4_114:                              ;   in Loop: Header=BB4_112 Depth=1
	s_or_b64 exec, exec, s[2:3]
	v_subrev_u32_e32 v3, s22, v12
	s_mov_b32 s48, 0
	s_xor_b64 s[42:43], vcc, -1
	s_mov_b64 s[44:45], s[34:35]
	v_mov_b32_e32 v4, v0
	s_mov_b32 s49, 0
	s_waitcnt lgkmcnt(0)
	s_barrier
	s_branch .LBB4_116
.LBB4_115:                              ;   in Loop: Header=BB4_116 Depth=2
                                        ; implicit-def: $sgpr49
                                        ; implicit-def: $sgpr48
                                        ; implicit-def: $sgpr44_sgpr45
	s_cbranch_execnz .LBB4_126
.LBB4_116:                              ;   Parent Loop BB4_112 Depth=1
                                        ; =>  This Inner Loop Header: Depth=2
	s_add_i32 s50, s33, s49
	s_cmp_ge_i32 s50, s21
	s_cbranch_scc1 .LBB4_115
; %bb.117:                              ;   in Loop: Header=BB4_116 Depth=2
	v_cmp_eq_u32_e32 vcc, s49, v0
	s_and_b64 s[46:47], s[40:41], vcc
	s_and_saveexec_b64 s[2:3], s[46:47]
	s_cbranch_execz .LBB4_123
; %bb.118:                              ;   in Loop: Header=BB4_116 Depth=2
	global_load_dwordx2 v[8:9], v5, s[44:45]
	ds_read_b64 v[6:7], v1
	s_mov_b64 s[46:47], -1
                                        ; implicit-def: $vgpr10_vgpr11
	s_waitcnt vmcnt(0)
	v_cmp_ngt_f32_e64 s[52:53], |v8|, |v9|
	s_and_b64 vcc, exec, s[52:53]
	s_cbranch_vccz .LBB4_120
; %bb.119:                              ;   in Loop: Header=BB4_116 Depth=2
	v_div_scale_f32 v10, s[46:47], v9, v9, v8
	v_rcp_f32_e32 v11, v10
	v_div_scale_f32 v13, vcc, v8, v9, v8
	v_fma_f32 v14, -v10, v11, 1.0
	v_fmac_f32_e32 v11, v14, v11
	v_mul_f32_e32 v14, v13, v11
	v_fma_f32 v15, -v10, v14, v13
	v_fmac_f32_e32 v14, v15, v11
	v_fma_f32 v10, -v10, v14, v13
	v_div_fmas_f32 v10, v10, v11, v14
	v_div_fixup_f32 v10, v10, v9, v8
	v_fma_f32 v11, v8, v10, v9
	v_div_scale_f32 v13, s[46:47], v11, v11, 1.0
	v_rcp_f32_e32 v14, v13
	s_mov_b64 s[46:47], 0
	v_fma_f32 v15, -v13, v14, 1.0
	v_fmac_f32_e32 v14, v15, v14
	v_div_scale_f32 v15, vcc, 1.0, v11, 1.0
	v_mul_f32_e32 v16, v15, v14
	v_fma_f32 v17, -v13, v16, v15
	v_fmac_f32_e32 v16, v17, v14
	v_fma_f32 v13, -v13, v16, v15
	v_div_fmas_f32 v13, v13, v14, v16
	v_div_fixup_f32 v14, v13, v11, 1.0
	s_waitcnt lgkmcnt(0)
	v_pk_fma_f32 v[16:17], v[10:11], v[6:7], v[6:7] op_sel:[0,0,1] op_sel_hi:[1,1,0]
	v_pk_fma_f32 v[10:11], v[10:11], v[6:7], v[6:7] op_sel:[0,0,1] op_sel_hi:[0,1,0] neg_lo:[0,0,1] neg_hi:[0,0,1]
	v_mov_b32_e32 v17, v11
	v_pk_mul_f32 v[10:11], v[14:15], v[16:17] op_sel_hi:[0,1]
.LBB4_120:                              ;   in Loop: Header=BB4_116 Depth=2
	s_andn2_b64 vcc, exec, s[46:47]
	s_cbranch_vccnz .LBB4_122
; %bb.121:                              ;   in Loop: Header=BB4_116 Depth=2
	v_div_scale_f32 v10, s[46:47], v8, v8, v9
	v_rcp_f32_e32 v11, v10
	v_div_scale_f32 v13, vcc, v9, v8, v9
	v_fma_f32 v14, -v10, v11, 1.0
	v_fmac_f32_e32 v11, v14, v11
	v_mul_f32_e32 v14, v13, v11
	v_fma_f32 v15, -v10, v14, v13
	v_fmac_f32_e32 v14, v15, v11
	v_fma_f32 v10, -v10, v14, v13
	v_div_fmas_f32 v10, v10, v11, v14
	v_div_fixup_f32 v10, v10, v8, v9
	v_fmac_f32_e32 v8, v9, v10
	v_div_scale_f32 v9, s[46:47], v8, v8, 1.0
	v_rcp_f32_e32 v11, v9
	s_nop 0
	v_fma_f32 v13, -v9, v11, 1.0
	v_fmac_f32_e32 v11, v13, v11
	v_div_scale_f32 v13, vcc, 1.0, v8, 1.0
	v_mul_f32_e32 v14, v13, v11
	v_fma_f32 v15, -v9, v14, v13
	v_fmac_f32_e32 v14, v15, v11
	v_fma_f32 v9, -v9, v14, v13
	v_div_fmas_f32 v9, v9, v11, v14
	s_waitcnt lgkmcnt(0)
	v_pk_fma_f32 v[14:15], v[10:11], v[6:7], v[6:7] op_sel:[0,1,0] op_sel_hi:[1,0,1]
	v_pk_fma_f32 v[6:7], v[10:11], v[6:7], v[6:7] op_sel:[0,1,0] op_sel_hi:[0,0,1] neg_lo:[1,0,0] neg_hi:[1,0,0]
	v_div_fixup_f32 v8, v9, v8, 1.0
	v_mov_b32_e32 v15, v7
	v_pk_mul_f32 v[10:11], v[8:9], v[14:15] op_sel_hi:[0,1]
.LBB4_122:                              ;   in Loop: Header=BB4_116 Depth=2
	ds_write_b64 v1, v[10:11]
.LBB4_123:                              ;   in Loop: Header=BB4_116 Depth=2
	s_or_b64 exec, exec, s[2:3]
	v_cmp_lt_u32_e32 vcc, s49, v0
	v_cmp_ge_i32_e64 s[2:3], s50, v3
	s_and_b64 s[46:47], s[42:43], vcc
	s_and_b64 s[46:47], s[46:47], s[2:3]
	s_waitcnt lgkmcnt(0)
	s_barrier
	s_and_saveexec_b64 s[2:3], s[46:47]
	s_cbranch_execz .LBB4_125
; %bb.124:                              ;   in Loop: Header=BB4_116 Depth=2
	v_lshl_add_u64 v[6:7], v[4:5], 3, s[44:45]
	global_load_dwordx2 v[6:7], v[6:7], off
	v_mov_b32_e32 v8, s48
	ds_read_b64 v[8:9], v8
	ds_read_b64 v[10:11], v1
	s_waitcnt vmcnt(0) lgkmcnt(1)
	v_pk_mul_f32 v[14:15], v[8:9], v[6:7] op_sel:[1,1] op_sel_hi:[0,1]
	v_pk_fma_f32 v[16:17], v[8:9], v[6:7], v[14:15] neg_lo:[0,0,1] neg_hi:[0,0,1]
	v_pk_fma_f32 v[6:7], v[8:9], v[6:7], v[14:15] op_sel_hi:[1,0,1]
	s_nop 0
	v_mov_b32_e32 v17, v7
	s_waitcnt lgkmcnt(0)
	v_pk_add_f32 v[6:7], v[10:11], v[16:17] neg_lo:[0,1] neg_hi:[0,1]
	ds_write_b64 v1, v[6:7]
.LBB4_125:                              ;   in Loop: Header=BB4_116 Depth=2
	s_or_b64 exec, exec, s[2:3]
	s_add_i32 s49, s49, 1
	s_add_i32 s48, s48, 8
	s_add_u32 s44, s44, s18
	s_addc_u32 s45, s45, s19
	s_cmpk_eq_i32 s49, 0x200
	v_add_u32_e32 v4, -1, v4
	s_cselect_b64 s[2:3], -1, 0
	s_and_b64 vcc, exec, s[2:3]
	s_cbranch_vccz .LBB4_116
.LBB4_126:                              ;   in Loop: Header=BB4_112 Depth=1
	s_add_i32 s60, s33, 0x200
	s_cmp_ge_i32 s60, s21
	s_cselect_b64 s[2:3], -1, 0
	s_and_b64 vcc, exec, s[2:3]
	s_waitcnt lgkmcnt(0)
	s_barrier
	s_cbranch_vccnz .LBB4_146
; %bb.127:                              ;   in Loop: Header=BB4_112 Depth=1
	v_ashrrev_i32_e32 v3, 31, v2
	v_lshl_add_u64 v[6:7], s[38:39], 0, v[2:3]
	v_lshlrev_b64 v[6:7], 3, v[6:7]
	s_mov_b64 s[42:43], 0
	s_mov_b64 s[44:45], s[34:35]
	v_mov_b32_e32 v3, v0
	s_mov_b64 s[46:47], s[36:37]
	s_mov_b32 s61, s60
                                        ; implicit-def: $sgpr48_sgpr49
	s_branch .LBB4_130
.LBB4_128:                              ;   in Loop: Header=BB4_130 Depth=2
	v_mad_u64_u32 v[14:15], s[52:53], s16, v10, 0
	v_mov_b32_e32 v4, v15
	v_mad_u64_u32 v[10:11], s[52:53], s17, v10, v[4:5]
	v_mov_b32_e32 v15, v10
	v_lshl_add_u64 v[10:11], v[14:15], 3, s[10:11]
	global_load_dwordx2 v[14:15], v[10:11], off
	s_addk_i32 s61, 0x200
	s_add_u32 s46, s46, 0x1000
	s_addc_u32 s47, s47, 0
	s_add_u32 s44, s44, 0x1000
	s_addc_u32 s45, s45, 0
	s_cmp_ge_i32 s61, s21
	s_cselect_b64 s[52:53], -1, 0
	s_andn2_b64 s[48:49], s[48:49], exec
	s_and_b64 s[52:53], s[52:53], exec
	s_or_b64 s[48:49], s[48:49], s[52:53]
	s_waitcnt vmcnt(0)
	v_pk_add_f32 v[8:9], v[14:15], v[8:9] neg_lo:[0,1] neg_hi:[0,1]
	global_store_dwordx2 v[10:11], v[8:9], off
.LBB4_129:                              ;   in Loop: Header=BB4_130 Depth=2
	s_or_b64 exec, exec, s[50:51]
	s_and_b64 s[50:51], exec, s[48:49]
	s_or_b64 s[42:43], s[50:51], s[42:43]
	s_andn2_b64 exec, exec, s[42:43]
	s_cbranch_execz .LBB4_145
.LBB4_130:                              ;   Parent Loop BB4_112 Depth=1
                                        ; =>  This Loop Header: Depth=2
                                        ;       Child Loop BB4_133 Depth 3
	v_add_u32_e32 v10, s61, v0
	v_cmp_gt_i32_e32 vcc, s21, v10
	s_or_b64 s[48:49], s[48:49], exec
	s_and_saveexec_b64 s[50:51], vcc
	s_cbranch_execz .LBB4_129
; %bb.131:                              ;   in Loop: Header=BB4_130 Depth=2
	v_mov_b32_e32 v4, v5
	v_subrev_u32_e32 v11, s22, v10
	v_add_u32_e32 v13, 0x1ff, v3
	v_add_u32_e32 v3, 0x200, v3
	s_mov_b32 s62, 0
	s_mov_b64 s[52:53], s[44:45]
	s_mov_b64 s[54:55], s[46:47]
	s_mov_b32 s63, 0
	v_mov_b64_e32 v[8:9], v[4:5]
	s_branch .LBB4_133
.LBB4_132:                              ;   in Loop: Header=BB4_133 Depth=3
	s_or_b64 exec, exec, s[56:57]
	s_add_i32 s63, s63, 2
	s_add_u32 s54, s54, s20
	s_addc_u32 s55, s55, s23
	s_add_i32 s62, s62, 16
	s_add_u32 s52, s52, s20
	s_addc_u32 s53, s53, s23
	s_cmpk_eq_i32 s63, 0x200
	s_cbranch_scc1 .LBB4_128
.LBB4_133:                              ;   Parent Loop BB4_112 Depth=1
                                        ;     Parent Loop BB4_130 Depth=2
                                        ; =>    This Inner Loop Header: Depth=3
	v_cmp_ne_u32_e32 vcc, s63, v3
	s_add_i32 s64, s33, s63
	s_or_b64 s[56:57], s[40:41], vcc
	s_and_saveexec_b64 s[58:59], s[56:57]
	s_xor_b64 s[56:57], exec, s[58:59]
	s_cbranch_execz .LBB4_137
; %bb.134:                              ;   in Loop: Header=BB4_133 Depth=3
	s_cmp_lt_i32 s64, s21
	s_cselect_b64 s[58:59], -1, 0
	v_cmp_ge_i32_e32 vcc, s64, v11
	s_and_b64 s[66:67], s[58:59], vcc
	s_and_saveexec_b64 s[58:59], s[66:67]
	s_cbranch_execz .LBB4_136
; %bb.135:                              ;   in Loop: Header=BB4_133 Depth=3
	v_lshl_add_u64 v[14:15], s[52:53], 0, v[6:7]
	global_load_dwordx2 v[14:15], v[14:15], off
	v_mov_b32_e32 v4, s62
	ds_read_b64 v[16:17], v4
	s_waitcnt vmcnt(0) lgkmcnt(0)
	v_pk_mul_f32 v[18:19], v[16:17], v[14:15] op_sel:[1,1] op_sel_hi:[0,1]
	v_pk_fma_f32 v[20:21], v[16:17], v[14:15], v[18:19] neg_lo:[0,0,1] neg_hi:[0,0,1]
	v_pk_fma_f32 v[14:15], v[16:17], v[14:15], v[18:19] op_sel_hi:[1,0,1]
	s_nop 0
	v_mov_b32_e32 v21, v15
	v_pk_add_f32 v[8:9], v[8:9], v[20:21]
.LBB4_136:                              ;   in Loop: Header=BB4_133 Depth=3
	s_or_b64 exec, exec, s[58:59]
.LBB4_137:                              ;   in Loop: Header=BB4_133 Depth=3
	s_andn2_saveexec_b64 s[56:57], s[56:57]
	s_cbranch_execz .LBB4_139
; %bb.138:                              ;   in Loop: Header=BB4_133 Depth=3
	v_mov_b32_e32 v4, s62
	ds_read_b64 v[14:15], v4
	s_waitcnt lgkmcnt(0)
	v_pk_add_f32 v[8:9], v[8:9], v[14:15]
.LBB4_139:                              ;   in Loop: Header=BB4_133 Depth=3
	s_or_b64 exec, exec, s[56:57]
	v_cmp_ne_u32_e32 vcc, s63, v13
	s_or_b64 s[56:57], s[40:41], vcc
	s_and_saveexec_b64 s[58:59], s[56:57]
	s_xor_b64 s[56:57], exec, s[58:59]
	s_cbranch_execz .LBB4_143
; %bb.140:                              ;   in Loop: Header=BB4_133 Depth=3
	s_add_i32 s64, s64, 1
	s_cmp_lt_i32 s64, s21
	s_cselect_b64 s[58:59], -1, 0
	v_cmp_ge_i32_e32 vcc, s64, v11
	s_and_b64 s[64:65], s[58:59], vcc
	s_and_saveexec_b64 s[58:59], s[64:65]
	s_cbranch_execz .LBB4_142
; %bb.141:                              ;   in Loop: Header=BB4_133 Depth=3
	v_lshl_add_u64 v[14:15], s[54:55], 0, v[6:7]
	global_load_dwordx2 v[14:15], v[14:15], off
	v_mov_b32_e32 v4, s62
	ds_read_b64 v[16:17], v4 offset:8
	s_waitcnt vmcnt(0) lgkmcnt(0)
	v_pk_mul_f32 v[18:19], v[16:17], v[14:15] op_sel:[1,1] op_sel_hi:[0,1]
	v_pk_fma_f32 v[20:21], v[16:17], v[14:15], v[18:19] neg_lo:[0,0,1] neg_hi:[0,0,1]
	v_pk_fma_f32 v[14:15], v[16:17], v[14:15], v[18:19] op_sel_hi:[1,0,1]
	s_nop 0
	v_mov_b32_e32 v21, v15
	v_pk_add_f32 v[8:9], v[8:9], v[20:21]
.LBB4_142:                              ;   in Loop: Header=BB4_133 Depth=3
	s_or_b64 exec, exec, s[58:59]
.LBB4_143:                              ;   in Loop: Header=BB4_133 Depth=3
	s_andn2_saveexec_b64 s[56:57], s[56:57]
	s_cbranch_execz .LBB4_132
; %bb.144:                              ;   in Loop: Header=BB4_133 Depth=3
	v_mov_b32_e32 v4, s62
	ds_read_b64 v[14:15], v4 offset:8
	s_waitcnt lgkmcnt(0)
	v_pk_add_f32 v[8:9], v[8:9], v[14:15]
	s_branch .LBB4_132
.LBB4_145:                              ;   in Loop: Header=BB4_112 Depth=1
	s_or_b64 exec, exec, s[42:43]
.LBB4_146:                              ;   in Loop: Header=BB4_112 Depth=1
	s_and_saveexec_b64 s[42:43], s[0:1]
	s_cbranch_execz .LBB4_111
; %bb.147:                              ;   in Loop: Header=BB4_112 Depth=1
	v_mad_u64_u32 v[6:7], s[0:1], s16, v12, 0
	ds_read_b64 v[8:9], v1
	v_mov_b32_e32 v4, v7
	v_mad_u64_u32 v[10:11], s[0:1], s17, v12, v[4:5]
	v_mov_b32_e32 v7, v10
	v_lshl_add_u64 v[6:7], v[6:7], 3, s[10:11]
	s_waitcnt lgkmcnt(0)
	global_store_dwordx2 v[6:7], v[8:9], off
	s_branch .LBB4_111
.LBB4_148:
	s_mov_b64 s[0:1], 0
.LBB4_149:
	s_andn2_b64 vcc, exec, s[0:1]
	s_cbranch_vccnz .LBB4_189
; %bb.150:
	s_andn2_b64 vcc, exec, s[12:13]
	s_cbranch_vccnz .LBB4_189
; %bb.151:
	s_add_i32 s34, s21, 0xfffffe00
	s_add_i32 s12, s21, -1
	s_add_u32 s2, s28, s30
	s_addc_u32 s3, s29, s31
	s_ashr_i32 s23, s22, 31
	s_lshl_b64 s[0:1], s[22:23], 3
	s_add_u32 s2, s2, s0
	s_addc_u32 s3, s3, s1
	s_ashr_i32 s13, s12, 31
	s_lshl_b64 s[0:1], s[12:13], 3
	s_sub_u32 s0, s2, s0
	s_subb_u32 s1, s3, s1
	s_add_u32 s14, s4, s0
	s_addc_u32 s15, s5, s1
	s_lshl_b64 s[18:19], s[8:9], 3
	s_add_u32 s13, s18, 8
	s_addc_u32 s20, s19, 0
	s_add_u32 s0, s6, s26
	s_addc_u32 s1, s7, s27
	;; [unrolled: 2-line block ×3, first 2 shown]
	s_ashr_i32 s3, s21, 31
	s_mov_b32 s2, s21
	s_lshl_b64 s[0:1], s[0:1], 3
	s_lshl_b64 s[2:3], s[2:3], 3
	s_sub_u32 s0, s0, s2
	s_subb_u32 s1, s1, s3
	s_add_u32 s0, s4, s0
	s_addc_u32 s1, s5, s1
	s_add_u32 s4, s0, 0xff8
	s_addc_u32 s5, s1, 0
	s_add_i32 s23, s21, 0xfffffe01
	s_add_u32 s33, s0, 0x1000
	s_addc_u32 s40, s1, 0
	s_lshl_b64 s[0:1], s[8:9], 4
	v_mov_b32_e32 v1, 0x2000
	v_add_u32_e32 v3, s21, v0
	s_add_u32 s41, s0, -16
	v_lshl_or_b32 v1, v0, 3, v1
	v_add_u32_e32 v2, 0xfffffe00, v3
	v_add_u32_e32 v16, 0xfffffc00, v3
	s_addc_u32 s42, s1, -1
	v_mov_b32_e32 v5, 0
	s_xor_b64 s[6:7], s[24:25], -1
	s_branch .LBB4_153
.LBB4_152:                              ;   in Loop: Header=BB4_153 Depth=1
	s_or_b64 exec, exec, s[8:9]
	s_addk_i32 s12, 0xfe00
	s_add_u32 s14, s14, 0x1000
	s_addc_u32 s15, s15, 0
	s_addk_i32 s21, 0xfe00
	s_add_u32 s4, s4, 0x1000
	s_addc_u32 s5, s5, 0
	s_addk_i32 s23, 0xfe00
	s_add_u32 s33, s33, 0x1000
	v_add_u32_e32 v2, 0xfffffe00, v2
	v_add_u32_e32 v16, 0xfffffe00, v16
	s_addc_u32 s40, s40, 0
	s_and_b64 vcc, exec, s[2:3]
	s_mov_b32 s34, s43
	s_barrier
	s_cbranch_vccnz .LBB4_189
.LBB4_153:                              ; =>This Loop Header: Depth=1
                                        ;     Child Loop BB4_158 Depth 2
                                        ;     Child Loop BB4_171 Depth 2
                                        ;       Child Loop BB4_174 Depth 3
	v_add_u32_e32 v17, s34, v0
	v_cmp_gt_i32_e32 vcc, 0, v17
	v_cmp_lt_i32_e64 s[0:1], -1, v17
	s_and_saveexec_b64 s[2:3], s[0:1]
	s_cbranch_execz .LBB4_155
; %bb.154:                              ;   in Loop: Header=BB4_153 Depth=1
	v_mad_u64_u32 v[6:7], s[8:9], s16, v17, 0
	v_mov_b32_e32 v4, v7
	v_mad_u64_u32 v[8:9], s[8:9], s17, v17, v[4:5]
	v_mov_b32_e32 v7, v8
	v_lshl_add_u64 v[6:7], v[6:7], 3, s[10:11]
	global_load_dwordx2 v[6:7], v[6:7], off
	s_waitcnt vmcnt(0)
	ds_write_b64 v1, v[6:7]
.LBB4_155:                              ;   in Loop: Header=BB4_153 Depth=1
	s_or_b64 exec, exec, s[2:3]
	v_mov_b32_e32 v3, v5
	v_mov_b64_e32 v[6:7], s[14:15]
	v_lshl_add_u64 v[8:9], v[2:3], 3, s[14:15]
	v_add_u32_e32 v3, s22, v17
	s_movk_i32 s26, 0x1ff
	s_movk_i32 s27, 0x2ff8
	s_xor_b64 s[8:9], vcc, -1
	s_mov_b32 s28, s12
	s_waitcnt lgkmcnt(0)
	s_barrier
	s_branch .LBB4_158
.LBB4_156:                              ;   in Loop: Header=BB4_158 Depth=2
	s_or_b64 exec, exec, s[2:3]
	s_add_i32 s26, s26, -1
	s_add_i32 s27, s27, -8
	;; [unrolled: 1-line block ×3, first 2 shown]
	s_cmp_eq_u32 s26, -1
	v_lshl_add_u64 v[8:9], v[8:9], 0, 8
	v_lshl_add_u64 v[6:7], v[6:7], 0, 8
	s_cselect_b64 s[2:3], -1, 0
.LBB4_157:                              ;   in Loop: Header=BB4_158 Depth=2
	s_and_b64 vcc, exec, s[2:3]
	s_cbranch_vccnz .LBB4_167
.LBB4_158:                              ;   Parent Loop BB4_153 Depth=1
                                        ; =>  This Inner Loop Header: Depth=2
	s_add_i32 s29, s12, s26
	s_addk_i32 s29, 0xfe01
	s_cmp_lt_i32 s29, 0
	s_mov_b64 s[2:3], -1
	s_cbranch_scc1 .LBB4_157
; %bb.159:                              ;   in Loop: Header=BB4_158 Depth=2
	v_cmp_eq_u32_e32 vcc, s26, v0
	s_and_b64 s[24:25], s[6:7], vcc
	s_and_saveexec_b64 s[2:3], s[24:25]
	s_cbranch_execz .LBB4_165
; %bb.160:                              ;   in Loop: Header=BB4_158 Depth=2
	s_mul_i32 s24, s20, s28
	s_mul_hi_u32 s25, s13, s28
	s_add_i32 s25, s25, s24
	s_mul_i32 s24, s13, s28
	v_lshl_add_u64 v[10:11], v[6:7], 0, s[24:25]
	global_load_dwordx2 v[12:13], v[10:11], off
	ds_read_b64 v[10:11], v1
	s_mov_b64 s[24:25], -1
                                        ; implicit-def: $vgpr14_vgpr15
	s_waitcnt vmcnt(0)
	v_cmp_ngt_f32_e64 s[30:31], |v12|, |v13|
	s_and_b64 vcc, exec, s[30:31]
	s_cbranch_vccz .LBB4_162
; %bb.161:                              ;   in Loop: Header=BB4_158 Depth=2
	v_div_scale_f32 v4, s[24:25], v13, v13, v12
	v_rcp_f32_e32 v14, v4
	v_div_scale_f32 v15, vcc, v12, v13, v12
	v_fma_f32 v18, -v4, v14, 1.0
	v_fmac_f32_e32 v14, v18, v14
	v_mul_f32_e32 v18, v15, v14
	v_fma_f32 v19, -v4, v18, v15
	v_fmac_f32_e32 v18, v19, v14
	v_fma_f32 v4, -v4, v18, v15
	v_div_fmas_f32 v4, v4, v14, v18
	v_div_fixup_f32 v4, v4, v13, v12
	v_fma_f32 v14, v12, v4, v13
	v_div_scale_f32 v15, s[24:25], v14, v14, 1.0
	v_rcp_f32_e32 v18, v15
	s_mov_b64 s[24:25], 0
	v_fma_f32 v19, -v15, v18, 1.0
	v_fmac_f32_e32 v18, v19, v18
	v_div_scale_f32 v19, vcc, 1.0, v14, 1.0
	v_mul_f32_e32 v20, v19, v18
	v_fma_f32 v21, -v15, v20, v19
	v_fmac_f32_e32 v20, v21, v18
	v_fma_f32 v15, -v15, v20, v19
	v_div_fmas_f32 v15, v15, v18, v20
	s_waitcnt lgkmcnt(0)
	v_pk_fma_f32 v[18:19], v[4:5], v[10:11], v[10:11] op_sel:[0,0,1] op_sel_hi:[1,1,0]
	v_pk_fma_f32 v[20:21], v[4:5], v[10:11], v[10:11] op_sel:[0,0,1] op_sel_hi:[0,1,0] neg_lo:[0,0,1] neg_hi:[0,0,1]
	v_div_fixup_f32 v14, v15, v14, 1.0
	v_mov_b32_e32 v19, v21
	v_pk_mul_f32 v[14:15], v[14:15], v[18:19] op_sel_hi:[0,1]
.LBB4_162:                              ;   in Loop: Header=BB4_158 Depth=2
	s_andn2_b64 vcc, exec, s[24:25]
	s_cbranch_vccnz .LBB4_164
; %bb.163:                              ;   in Loop: Header=BB4_158 Depth=2
	v_div_scale_f32 v4, s[24:25], v12, v12, v13
	v_rcp_f32_e32 v14, v4
	v_div_scale_f32 v15, vcc, v13, v12, v13
	v_fma_f32 v18, -v4, v14, 1.0
	v_fmac_f32_e32 v14, v18, v14
	v_mul_f32_e32 v18, v15, v14
	v_fma_f32 v19, -v4, v18, v15
	v_fmac_f32_e32 v18, v19, v14
	v_fma_f32 v4, -v4, v18, v15
	v_div_fmas_f32 v4, v4, v14, v18
	v_div_fixup_f32 v4, v4, v12, v13
	v_fmac_f32_e32 v12, v13, v4
	v_div_scale_f32 v13, s[24:25], v12, v12, 1.0
	v_rcp_f32_e32 v14, v13
	s_nop 0
	v_fma_f32 v15, -v13, v14, 1.0
	v_fmac_f32_e32 v14, v15, v14
	v_div_scale_f32 v15, vcc, 1.0, v12, 1.0
	v_mul_f32_e32 v18, v15, v14
	v_fma_f32 v19, -v13, v18, v15
	v_fmac_f32_e32 v18, v19, v14
	v_fma_f32 v13, -v13, v18, v15
	v_div_fmas_f32 v13, v13, v14, v18
	s_waitcnt lgkmcnt(0)
	v_pk_fma_f32 v[14:15], v[4:5], v[10:11], v[10:11] op_sel:[0,1,0] op_sel_hi:[1,0,1]
	v_pk_fma_f32 v[10:11], v[4:5], v[10:11], v[10:11] op_sel:[0,1,0] op_sel_hi:[0,0,1] neg_lo:[1,0,0] neg_hi:[1,0,0]
	v_div_fixup_f32 v12, v13, v12, 1.0
	v_mov_b32_e32 v15, v11
	v_pk_mul_f32 v[14:15], v[12:13], v[14:15] op_sel_hi:[0,1]
.LBB4_164:                              ;   in Loop: Header=BB4_158 Depth=2
	ds_write_b64 v1, v[14:15]
.LBB4_165:                              ;   in Loop: Header=BB4_158 Depth=2
	s_or_b64 exec, exec, s[2:3]
	v_cmp_gt_u32_e32 vcc, s26, v0
	v_cmp_le_i32_e64 s[2:3], s29, v3
	s_and_b64 s[24:25], s[8:9], vcc
	s_and_b64 s[24:25], s[24:25], s[2:3]
	s_waitcnt lgkmcnt(0)
	s_barrier
	s_and_saveexec_b64 s[2:3], s[24:25]
	s_cbranch_execz .LBB4_156
; %bb.166:                              ;   in Loop: Header=BB4_158 Depth=2
	v_mov_b32_e32 v4, s28
	v_mad_u64_u32 v[10:11], s[24:25], s18, v4, v[8:9]
	s_mul_i32 s24, s19, s28
	s_nop 0
	v_add_u32_e32 v11, s24, v11
	global_load_dwordx2 v[10:11], v[10:11], off
	v_mov_b32_e32 v4, s27
	ds_read_b64 v[12:13], v4
	ds_read_b64 v[14:15], v1
	s_waitcnt vmcnt(0) lgkmcnt(1)
	v_pk_mul_f32 v[18:19], v[12:13], v[10:11] op_sel:[1,1] op_sel_hi:[0,1]
	v_pk_fma_f32 v[20:21], v[12:13], v[10:11], v[18:19] neg_lo:[0,0,1] neg_hi:[0,0,1]
	v_pk_fma_f32 v[10:11], v[12:13], v[10:11], v[18:19] op_sel_hi:[1,0,1]
	s_nop 0
	v_mov_b32_e32 v21, v11
	s_waitcnt lgkmcnt(0)
	v_pk_add_f32 v[10:11], v[14:15], v[20:21] neg_lo:[0,1] neg_hi:[0,1]
	ds_write_b64 v1, v[10:11]
	s_branch .LBB4_156
.LBB4_167:                              ;   in Loop: Header=BB4_153 Depth=1
	s_add_i32 s43, s34, 0xfffffe00
	s_cmp_lt_i32 s34, 1
	s_cselect_b64 s[2:3], -1, 0
	s_and_b64 vcc, exec, s[2:3]
	s_waitcnt lgkmcnt(0)
	s_barrier
	s_cbranch_vccnz .LBB4_187
; %bb.168:                              ;   in Loop: Header=BB4_153 Depth=1
	s_mul_i32 s8, s19, s34
	s_mul_hi_u32 s9, s18, s34
	s_add_i32 s9, s9, s8
	s_mul_i32 s8, s18, s34
	s_add_u32 s8, s33, s8
	s_addc_u32 s9, s40, s9
	s_mov_b64 s[24:25], 0
	v_mov_b32_e32 v4, v16
	v_mov_b32_e32 v3, v0
	s_mov_b32 s44, s43
                                        ; implicit-def: $sgpr26_sgpr27
	s_branch .LBB4_171
.LBB4_169:                              ;   in Loop: Header=BB4_171 Depth=2
	v_mad_u64_u32 v[8:9], s[30:31], s16, v10, 0
	v_mov_b32_e32 v12, v9
	v_mad_u64_u32 v[10:11], s[30:31], s17, v10, v[12:13]
	v_mov_b32_e32 v9, v10
	v_lshl_add_u64 v[8:9], v[8:9], 3, s[10:11]
	global_load_dwordx2 v[10:11], v[8:9], off
	s_add_i32 s34, s44, 0xfffffe00
	s_cmp_lt_i32 s44, 1
	s_cselect_b64 s[30:31], -1, 0
	s_andn2_b64 s[26:27], s[26:27], exec
	s_and_b64 s[30:31], s[30:31], exec
	v_add_u32_e32 v4, 0xfffffe00, v4
	s_or_b64 s[26:27], s[26:27], s[30:31]
	s_mov_b32 s44, s34
	s_waitcnt vmcnt(0)
	v_pk_add_f32 v[6:7], v[10:11], v[6:7] neg_lo:[0,1] neg_hi:[0,1]
	global_store_dwordx2 v[8:9], v[6:7], off
.LBB4_170:                              ;   in Loop: Header=BB4_171 Depth=2
	s_or_b64 exec, exec, s[28:29]
	s_and_b64 s[28:29], exec, s[26:27]
	s_or_b64 s[24:25], s[28:29], s[24:25]
	s_andn2_b64 exec, exec, s[24:25]
	s_cbranch_execz .LBB4_186
.LBB4_171:                              ;   Parent Loop BB4_153 Depth=1
                                        ; =>  This Loop Header: Depth=2
                                        ;       Child Loop BB4_174 Depth 3
	v_add_u32_e32 v10, s44, v0
	v_cmp_lt_i32_e32 vcc, -1, v10
	s_or_b64 s[26:27], s[26:27], exec
	s_and_saveexec_b64 s[28:29], vcc
	s_cbranch_execz .LBB4_170
; %bb.172:                              ;   in Loop: Header=BB4_171 Depth=2
	v_lshlrev_b64 v[8:9], 3, v[4:5]
	v_add_u32_e32 v11, s22, v10
	v_add_u32_e32 v12, 0xfffffdff, v3
	;; [unrolled: 1-line block ×3, first 2 shown]
	v_mov_b32_e32 v6, v5
	v_mov_b32_e32 v7, v5
	s_mov_b32 s45, 0
	s_movk_i32 s46, 0x2000
	s_mov_b64 s[30:31], s[8:9]
	s_mov_b32 s47, s23
	s_mov_b64 s[34:35], s[4:5]
	s_branch .LBB4_174
.LBB4_173:                              ;   in Loop: Header=BB4_174 Depth=3
	s_or_b64 exec, exec, s[36:37]
	s_add_i32 s45, s45, 2
	s_add_i32 s46, s46, 16
	s_add_u32 s34, s34, -16
	s_addc_u32 s35, s35, -1
	s_add_i32 s47, s47, 2
	s_add_u32 s30, s30, s41
	s_addc_u32 s31, s31, s42
	s_cmpk_eq_i32 s45, 0x200
	s_cbranch_scc1 .LBB4_169
.LBB4_174:                              ;   Parent Loop BB4_153 Depth=1
                                        ;     Parent Loop BB4_171 Depth=2
                                        ; =>    This Inner Loop Header: Depth=3
	v_cmp_ne_u32_e32 vcc, s45, v3
	s_add_i32 s48, s21, s45
	s_or_b64 s[36:37], s[6:7], vcc
	s_and_saveexec_b64 s[38:39], s[36:37]
	s_xor_b64 s[36:37], exec, s[38:39]
	s_cbranch_execz .LBB4_178
; %bb.175:                              ;   in Loop: Header=BB4_174 Depth=3
	s_add_i32 s38, s48, 0xfffffe00
	v_cmp_le_i32_e32 vcc, s38, v11
	s_and_saveexec_b64 s[38:39], vcc
	s_cbranch_execz .LBB4_177
; %bb.176:                              ;   in Loop: Header=BB4_174 Depth=3
	v_lshl_add_u64 v[14:15], s[30:31], 0, v[8:9]
	global_load_dwordx2 v[14:15], v[14:15], off
	v_mov_b32_e32 v13, s46
	ds_read_b64 v[18:19], v13
	s_waitcnt vmcnt(0) lgkmcnt(0)
	v_pk_mul_f32 v[20:21], v[18:19], v[14:15] op_sel:[1,1] op_sel_hi:[0,1]
	v_pk_fma_f32 v[22:23], v[18:19], v[14:15], v[20:21] neg_lo:[0,0,1] neg_hi:[0,0,1]
	v_pk_fma_f32 v[14:15], v[18:19], v[14:15], v[20:21] op_sel_hi:[1,0,1]
	s_nop 0
	v_mov_b32_e32 v23, v15
	v_pk_add_f32 v[6:7], v[6:7], v[22:23]
.LBB4_177:                              ;   in Loop: Header=BB4_174 Depth=3
	s_or_b64 exec, exec, s[38:39]
.LBB4_178:                              ;   in Loop: Header=BB4_174 Depth=3
	s_andn2_saveexec_b64 s[36:37], s[36:37]
	s_cbranch_execz .LBB4_180
; %bb.179:                              ;   in Loop: Header=BB4_174 Depth=3
	v_mov_b32_e32 v13, s46
	ds_read_b64 v[14:15], v13
	s_waitcnt lgkmcnt(0)
	v_pk_add_f32 v[6:7], v[6:7], v[14:15]
.LBB4_180:                              ;   in Loop: Header=BB4_174 Depth=3
	s_or_b64 exec, exec, s[36:37]
	v_cmp_ne_u32_e32 vcc, s45, v12
	s_or_b64 s[36:37], s[6:7], vcc
	s_and_saveexec_b64 s[38:39], s[36:37]
	s_xor_b64 s[36:37], exec, s[38:39]
	s_cbranch_execz .LBB4_184
; %bb.181:                              ;   in Loop: Header=BB4_174 Depth=3
	s_addk_i32 s48, 0xfe01
	v_cmp_le_i32_e32 vcc, s48, v11
	s_and_saveexec_b64 s[38:39], vcc
	s_cbranch_execz .LBB4_183
; %bb.182:                              ;   in Loop: Header=BB4_174 Depth=3
	s_mul_i32 s48, s19, s47
	s_mul_hi_u32 s49, s18, s47
	s_add_i32 s49, s49, s48
	s_mul_i32 s48, s18, s47
	s_add_u32 s48, s34, s48
	s_addc_u32 s49, s35, s49
	v_lshl_add_u64 v[14:15], s[48:49], 0, v[8:9]
	global_load_dwordx2 v[14:15], v[14:15], off
	v_mov_b32_e32 v13, s46
	ds_read_b64 v[18:19], v13 offset:8
	s_waitcnt vmcnt(0) lgkmcnt(0)
	v_pk_mul_f32 v[20:21], v[18:19], v[14:15] op_sel:[1,1] op_sel_hi:[0,1]
	v_pk_fma_f32 v[22:23], v[18:19], v[14:15], v[20:21] neg_lo:[0,0,1] neg_hi:[0,0,1]
	v_pk_fma_f32 v[14:15], v[18:19], v[14:15], v[20:21] op_sel_hi:[1,0,1]
	s_nop 0
	v_mov_b32_e32 v23, v15
	v_pk_add_f32 v[6:7], v[6:7], v[22:23]
.LBB4_183:                              ;   in Loop: Header=BB4_174 Depth=3
	s_or_b64 exec, exec, s[38:39]
.LBB4_184:                              ;   in Loop: Header=BB4_174 Depth=3
	s_andn2_saveexec_b64 s[36:37], s[36:37]
	s_cbranch_execz .LBB4_173
; %bb.185:                              ;   in Loop: Header=BB4_174 Depth=3
	v_mov_b32_e32 v13, s46
	ds_read_b64 v[14:15], v13 offset:8
	s_waitcnt lgkmcnt(0)
	v_pk_add_f32 v[6:7], v[6:7], v[14:15]
	s_branch .LBB4_173
.LBB4_186:                              ;   in Loop: Header=BB4_153 Depth=1
	s_or_b64 exec, exec, s[24:25]
.LBB4_187:                              ;   in Loop: Header=BB4_153 Depth=1
	s_and_saveexec_b64 s[8:9], s[0:1]
	s_cbranch_execz .LBB4_152
; %bb.188:                              ;   in Loop: Header=BB4_153 Depth=1
	v_mad_u64_u32 v[6:7], s[0:1], s16, v17, 0
	ds_read_b64 v[8:9], v1
	v_mov_b32_e32 v4, v7
	v_mad_u64_u32 v[10:11], s[0:1], s17, v17, v[4:5]
	v_mov_b32_e32 v7, v10
	v_lshl_add_u64 v[6:7], v[6:7], 3, s[10:11]
	s_waitcnt lgkmcnt(0)
	global_store_dwordx2 v[6:7], v[8:9], off
	s_branch .LBB4_152
.LBB4_189:
	s_endpgm
	.section	.rodata,"a",@progbits
	.p2align	6, 0x0
	.amdhsa_kernel _ZL19rocblas_tbsv_kernelILb1ELi512EPK19rocblas_complex_numIfEPS1_Ev18rocblas_operation_bbiiT1_lllT2_lll
		.amdhsa_group_segment_fixed_size 16384
		.amdhsa_private_segment_fixed_size 0
		.amdhsa_kernarg_size 80
		.amdhsa_user_sgpr_count 2
		.amdhsa_user_sgpr_dispatch_ptr 0
		.amdhsa_user_sgpr_queue_ptr 0
		.amdhsa_user_sgpr_kernarg_segment_ptr 1
		.amdhsa_user_sgpr_dispatch_id 0
		.amdhsa_user_sgpr_kernarg_preload_length 0
		.amdhsa_user_sgpr_kernarg_preload_offset 0
		.amdhsa_user_sgpr_private_segment_size 0
		.amdhsa_uses_dynamic_stack 0
		.amdhsa_enable_private_segment 0
		.amdhsa_system_sgpr_workgroup_id_x 1
		.amdhsa_system_sgpr_workgroup_id_y 0
		.amdhsa_system_sgpr_workgroup_id_z 0
		.amdhsa_system_sgpr_workgroup_info 0
		.amdhsa_system_vgpr_workitem_id 0
		.amdhsa_next_free_vgpr 30
		.amdhsa_next_free_sgpr 68
		.amdhsa_accum_offset 32
		.amdhsa_reserve_vcc 1
		.amdhsa_float_round_mode_32 0
		.amdhsa_float_round_mode_16_64 0
		.amdhsa_float_denorm_mode_32 3
		.amdhsa_float_denorm_mode_16_64 3
		.amdhsa_dx10_clamp 1
		.amdhsa_ieee_mode 1
		.amdhsa_fp16_overflow 0
		.amdhsa_tg_split 0
		.amdhsa_exception_fp_ieee_invalid_op 0
		.amdhsa_exception_fp_denorm_src 0
		.amdhsa_exception_fp_ieee_div_zero 0
		.amdhsa_exception_fp_ieee_overflow 0
		.amdhsa_exception_fp_ieee_underflow 0
		.amdhsa_exception_fp_ieee_inexact 0
		.amdhsa_exception_int_div_zero 0
	.end_amdhsa_kernel
	.section	.text._ZL19rocblas_tbsv_kernelILb1ELi512EPK19rocblas_complex_numIfEPS1_Ev18rocblas_operation_bbiiT1_lllT2_lll,"axG",@progbits,_ZL19rocblas_tbsv_kernelILb1ELi512EPK19rocblas_complex_numIfEPS1_Ev18rocblas_operation_bbiiT1_lllT2_lll,comdat
.Lfunc_end4:
	.size	_ZL19rocblas_tbsv_kernelILb1ELi512EPK19rocblas_complex_numIfEPS1_Ev18rocblas_operation_bbiiT1_lllT2_lll, .Lfunc_end4-_ZL19rocblas_tbsv_kernelILb1ELi512EPK19rocblas_complex_numIfEPS1_Ev18rocblas_operation_bbiiT1_lllT2_lll
                                        ; -- End function
	.set _ZL19rocblas_tbsv_kernelILb1ELi512EPK19rocblas_complex_numIfEPS1_Ev18rocblas_operation_bbiiT1_lllT2_lll.num_vgpr, 30
	.set _ZL19rocblas_tbsv_kernelILb1ELi512EPK19rocblas_complex_numIfEPS1_Ev18rocblas_operation_bbiiT1_lllT2_lll.num_agpr, 0
	.set _ZL19rocblas_tbsv_kernelILb1ELi512EPK19rocblas_complex_numIfEPS1_Ev18rocblas_operation_bbiiT1_lllT2_lll.numbered_sgpr, 68
	.set _ZL19rocblas_tbsv_kernelILb1ELi512EPK19rocblas_complex_numIfEPS1_Ev18rocblas_operation_bbiiT1_lllT2_lll.num_named_barrier, 0
	.set _ZL19rocblas_tbsv_kernelILb1ELi512EPK19rocblas_complex_numIfEPS1_Ev18rocblas_operation_bbiiT1_lllT2_lll.private_seg_size, 0
	.set _ZL19rocblas_tbsv_kernelILb1ELi512EPK19rocblas_complex_numIfEPS1_Ev18rocblas_operation_bbiiT1_lllT2_lll.uses_vcc, 1
	.set _ZL19rocblas_tbsv_kernelILb1ELi512EPK19rocblas_complex_numIfEPS1_Ev18rocblas_operation_bbiiT1_lllT2_lll.uses_flat_scratch, 0
	.set _ZL19rocblas_tbsv_kernelILb1ELi512EPK19rocblas_complex_numIfEPS1_Ev18rocblas_operation_bbiiT1_lllT2_lll.has_dyn_sized_stack, 0
	.set _ZL19rocblas_tbsv_kernelILb1ELi512EPK19rocblas_complex_numIfEPS1_Ev18rocblas_operation_bbiiT1_lllT2_lll.has_recursion, 0
	.set _ZL19rocblas_tbsv_kernelILb1ELi512EPK19rocblas_complex_numIfEPS1_Ev18rocblas_operation_bbiiT1_lllT2_lll.has_indirect_call, 0
	.section	.AMDGPU.csdata,"",@progbits
; Kernel info:
; codeLenInByte = 7560
; TotalNumSgprs: 74
; NumVgprs: 30
; NumAgprs: 0
; TotalNumVgprs: 30
; ScratchSize: 0
; MemoryBound: 0
; FloatMode: 240
; IeeeMode: 1
; LDSByteSize: 16384 bytes/workgroup (compile time only)
; SGPRBlocks: 9
; VGPRBlocks: 3
; NumSGPRsForWavesPerEU: 74
; NumVGPRsForWavesPerEU: 30
; AccumOffset: 32
; Occupancy: 8
; WaveLimiterHint : 0
; COMPUTE_PGM_RSRC2:SCRATCH_EN: 0
; COMPUTE_PGM_RSRC2:USER_SGPR: 2
; COMPUTE_PGM_RSRC2:TRAP_HANDLER: 0
; COMPUTE_PGM_RSRC2:TGID_X_EN: 1
; COMPUTE_PGM_RSRC2:TGID_Y_EN: 0
; COMPUTE_PGM_RSRC2:TGID_Z_EN: 0
; COMPUTE_PGM_RSRC2:TIDIG_COMP_CNT: 0
; COMPUTE_PGM_RSRC3_GFX90A:ACCUM_OFFSET: 7
; COMPUTE_PGM_RSRC3_GFX90A:TG_SPLIT: 0
	.section	.text._ZL19rocblas_tbsv_kernelILb0ELi512EPK19rocblas_complex_numIfEPS1_Ev18rocblas_operation_bbiiT1_lllT2_lll,"axG",@progbits,_ZL19rocblas_tbsv_kernelILb0ELi512EPK19rocblas_complex_numIfEPS1_Ev18rocblas_operation_bbiiT1_lllT2_lll,comdat
	.globl	_ZL19rocblas_tbsv_kernelILb0ELi512EPK19rocblas_complex_numIfEPS1_Ev18rocblas_operation_bbiiT1_lllT2_lll ; -- Begin function _ZL19rocblas_tbsv_kernelILb0ELi512EPK19rocblas_complex_numIfEPS1_Ev18rocblas_operation_bbiiT1_lllT2_lll
	.p2align	8
	.type	_ZL19rocblas_tbsv_kernelILb0ELi512EPK19rocblas_complex_numIfEPS1_Ev18rocblas_operation_bbiiT1_lllT2_lll,@function
_ZL19rocblas_tbsv_kernelILb0ELi512EPK19rocblas_complex_numIfEPS1_Ev18rocblas_operation_bbiiT1_lllT2_lll: ; @_ZL19rocblas_tbsv_kernelILb0ELi512EPK19rocblas_complex_numIfEPS1_Ev18rocblas_operation_bbiiT1_lllT2_lll
; %bb.0:
	s_load_dwordx2 s[38:39], s[0:1], 0x0
	s_load_dwordx4 s[20:23], s[0:1], 0x4
	s_load_dwordx16 s[4:19], s[0:1], 0x10
	s_waitcnt lgkmcnt(0)
	s_bitcmp1_b32 s39, 0
	s_cselect_b64 s[0:1], -1, 0
	s_xor_b64 s[36:37], s[0:1], -1
	s_bitcmp1_b32 s20, 8
	s_mul_i32 s0, s11, s2
	s_mul_hi_u32 s1, s10, s2
	s_cselect_b64 s[24:25], -1, 0
	s_add_i32 s27, s1, s0
	s_mul_i32 s26, s10, s2
	s_lshl_b64 s[28:29], s[26:27], 3
	s_add_u32 s0, s4, s28
	s_addc_u32 s1, s5, s29
	s_lshl_b64 s[30:31], s[6:7], 3
	s_add_u32 s34, s0, s30
	s_addc_u32 s35, s1, s31
	s_mul_i32 s0, s19, s2
	s_mul_hi_u32 s1, s18, s2
	s_add_i32 s1, s1, s0
	s_mul_i32 s0, s18, s2
	s_lshl_b64 s[0:1], s[0:1], 3
	s_add_u32 s2, s12, s0
	s_addc_u32 s3, s13, s1
	s_lshl_b64 s[0:1], s[14:15], 3
	s_add_u32 s10, s2, s0
	s_addc_u32 s11, s3, s1
	s_cmp_gt_i32 s21, 0
	s_cselect_b64 s[12:13], -1, 0
	s_cmpk_lg_i32 s38, 0x6f
	s_mov_b64 s[0:1], -1
	s_cbranch_scc0 .LBB5_107
; %bb.1:
	s_and_b64 vcc, exec, s[36:37]
	s_cbranch_vccz .LBB5_54
; %bb.2:
	s_andn2_b64 vcc, exec, s[12:13]
	s_cbranch_vccnz .LBB5_53
; %bb.3:
	s_add_i32 s46, s21, 0xfffffe00
	s_add_i32 s20, s21, -1
	s_add_u32 s2, s28, s30
	s_addc_u32 s3, s29, s31
	s_ashr_i32 s1, s21, 31
	s_mov_b32 s0, s21
	s_lshl_b64 s[0:1], s[0:1], 3
	s_add_u32 s0, s2, s0
	s_addc_u32 s1, s3, s1
	s_add_u32 s0, s4, s0
	s_addc_u32 s1, s5, s1
	v_mov_b32_e32 v1, 0x3000
	s_add_u32 s14, s0, 0xfffff000
	v_add_u32_e32 v2, s21, v0
	v_lshl_or_b32 v1, v0, 3, v1
	v_sub_u32_e32 v12, 0, v0
	s_addc_u32 s15, s1, -1
	v_add_u32_e32 v13, 0xfffffc00, v2
	s_lshl_b64 s[18:19], s[8:9], 3
	s_xor_b64 s[38:39], s[24:25], -1
	v_mov_b32_e32 v3, 0
	s_mov_b64 s[40:41], 0x1000
	s_mov_b32 s23, s21
	s_branch .LBB5_5
.LBB5_4:                                ;   in Loop: Header=BB5_5 Depth=1
	s_or_b64 exec, exec, s[42:43]
	s_addk_i32 s20, 0xfe00
	s_addk_i32 s23, 0xfe00
	s_add_u32 s14, s14, 0xfffff000
	s_addc_u32 s15, s15, -1
	v_add_u32_e32 v13, 0xfffffe00, v13
	s_andn2_b64 vcc, exec, s[2:3]
	s_mov_b32 s46, s33
	s_barrier
	s_cbranch_vccz .LBB5_53
.LBB5_5:                                ; =>This Loop Header: Depth=1
                                        ;     Child Loop BB5_10 Depth 2
                                        ;     Child Loop BB5_23 Depth 2
                                        ;       Child Loop BB5_26 Depth 3
	v_add_u32_e32 v14, s46, v0
	v_cmp_gt_i32_e32 vcc, 0, v14
	v_cmp_lt_i32_e64 s[0:1], -1, v14
	s_and_saveexec_b64 s[2:3], s[0:1]
	s_cbranch_execz .LBB5_7
; %bb.6:                                ;   in Loop: Header=BB5_5 Depth=1
	v_mad_u64_u32 v[4:5], s[42:43], s16, v14, 0
	v_mov_b32_e32 v2, v5
	v_mad_u64_u32 v[6:7], s[42:43], s17, v14, v[2:3]
	v_mov_b32_e32 v5, v6
	v_lshl_add_u64 v[4:5], v[4:5], 3, s[10:11]
	global_load_dwordx2 v[4:5], v[4:5], off
	s_waitcnt vmcnt(0)
	ds_write_b64 v1, v[4:5]
.LBB5_7:                                ;   in Loop: Header=BB5_5 Depth=1
	s_or_b64 exec, exec, s[2:3]
	v_ashrrev_i32_e32 v2, 31, v14
	v_mul_lo_u32 v6, s9, v14
	v_mul_lo_u32 v2, s8, v2
	v_mad_u64_u32 v[4:5], s[2:3], s8, v14, 0
	v_add3_u32 v5, v5, v2, v6
	v_add_u32_e32 v15, s22, v14
	v_lshl_add_u64 v[4:5], v[4:5], 3, s[34:35]
	s_movk_i32 s33, 0x1ff
	s_movk_i32 s47, 0x3ff8
	s_xor_b64 s[42:43], vcc, -1
	s_waitcnt lgkmcnt(0)
	s_barrier
	s_branch .LBB5_10
.LBB5_8:                                ;   in Loop: Header=BB5_10 Depth=2
	s_or_b64 exec, exec, s[2:3]
	s_add_i32 s33, s33, -1
	s_add_i32 s47, s47, -8
	s_cmp_eq_u32 s33, -1
	s_cselect_b64 s[2:3], -1, 0
.LBB5_9:                                ;   in Loop: Header=BB5_10 Depth=2
	s_and_b64 vcc, exec, s[2:3]
	s_cbranch_vccnz .LBB5_19
.LBB5_10:                               ;   Parent Loop BB5_5 Depth=1
                                        ; =>  This Inner Loop Header: Depth=2
	s_add_i32 s48, s20, s33
	s_addk_i32 s48, 0xfe01
	s_cmp_lt_i32 s48, 0
	s_mov_b64 s[2:3], -1
	s_cbranch_scc1 .LBB5_9
; %bb.11:                               ;   in Loop: Header=BB5_10 Depth=2
	v_add_u32_e32 v2, s33, v12
	v_cmp_eq_u32_e32 vcc, 0, v2
	s_and_b64 s[44:45], s[38:39], vcc
	s_and_saveexec_b64 s[2:3], s[44:45]
	s_cbranch_execz .LBB5_17
; %bb.12:                               ;   in Loop: Header=BB5_10 Depth=2
	s_mul_i32 s44, s9, s48
	s_mul_hi_u32 s45, s8, s48
	s_add_i32 s45, s45, s44
	s_mul_i32 s44, s8, s48
	s_lshl_b64 s[44:45], s[44:45], 3
	s_add_u32 s44, s34, s44
	s_addc_u32 s45, s35, s45
	global_load_dwordx2 v[8:9], v3, s[44:45]
	ds_read_b64 v[6:7], v1
	s_mov_b64 s[44:45], -1
                                        ; implicit-def: $vgpr10_vgpr11
	s_waitcnt vmcnt(0)
	v_cmp_ngt_f32_e64 s[50:51], |v8|, |v9|
	s_and_b64 vcc, exec, s[50:51]
	s_cbranch_vccz .LBB5_14
; %bb.13:                               ;   in Loop: Header=BB5_10 Depth=2
	v_div_scale_f32 v10, s[44:45], v9, v9, v8
	v_rcp_f32_e32 v11, v10
	v_div_scale_f32 v16, vcc, v8, v9, v8
	v_fma_f32 v17, -v10, v11, 1.0
	v_fmac_f32_e32 v11, v17, v11
	v_mul_f32_e32 v17, v16, v11
	v_fma_f32 v18, -v10, v17, v16
	v_fmac_f32_e32 v17, v18, v11
	v_fma_f32 v10, -v10, v17, v16
	v_div_fmas_f32 v10, v10, v11, v17
	v_div_fixup_f32 v10, v10, v9, v8
	v_fma_f32 v11, v8, v10, v9
	v_div_scale_f32 v16, s[44:45], v11, v11, 1.0
	v_rcp_f32_e32 v17, v16
	s_mov_b64 s[44:45], 0
	v_fma_f32 v18, -v16, v17, 1.0
	v_fmac_f32_e32 v17, v18, v17
	v_div_scale_f32 v18, vcc, 1.0, v11, 1.0
	v_mul_f32_e32 v19, v18, v17
	v_fma_f32 v20, -v16, v19, v18
	v_fmac_f32_e32 v19, v20, v17
	v_fma_f32 v16, -v16, v19, v18
	v_div_fmas_f32 v16, v16, v17, v19
	v_div_fixup_f32 v16, v16, v11, 1.0
	s_waitcnt lgkmcnt(0)
	v_pk_fma_f32 v[18:19], v[10:11], v[6:7], v[6:7] op_sel:[0,0,1] op_sel_hi:[1,1,0]
	v_pk_fma_f32 v[10:11], v[10:11], v[6:7], v[6:7] op_sel:[0,0,1] op_sel_hi:[0,1,0] neg_lo:[0,0,1] neg_hi:[0,0,1]
	v_mov_b32_e32 v19, v11
	v_pk_mul_f32 v[10:11], v[16:17], v[18:19] op_sel_hi:[0,1]
.LBB5_14:                               ;   in Loop: Header=BB5_10 Depth=2
	s_andn2_b64 vcc, exec, s[44:45]
	s_cbranch_vccnz .LBB5_16
; %bb.15:                               ;   in Loop: Header=BB5_10 Depth=2
	v_div_scale_f32 v10, s[44:45], v8, v8, v9
	v_rcp_f32_e32 v11, v10
	v_div_scale_f32 v16, vcc, v9, v8, v9
	v_fma_f32 v17, -v10, v11, 1.0
	v_fmac_f32_e32 v11, v17, v11
	v_mul_f32_e32 v17, v16, v11
	v_fma_f32 v18, -v10, v17, v16
	v_fmac_f32_e32 v17, v18, v11
	v_fma_f32 v10, -v10, v17, v16
	v_div_fmas_f32 v10, v10, v11, v17
	v_div_fixup_f32 v10, v10, v8, v9
	v_fmac_f32_e32 v8, v9, v10
	v_div_scale_f32 v9, s[44:45], v8, v8, 1.0
	v_rcp_f32_e32 v11, v9
	s_nop 0
	v_fma_f32 v16, -v9, v11, 1.0
	v_fmac_f32_e32 v11, v16, v11
	v_div_scale_f32 v16, vcc, 1.0, v8, 1.0
	v_mul_f32_e32 v17, v16, v11
	v_fma_f32 v18, -v9, v17, v16
	v_fmac_f32_e32 v17, v18, v11
	v_fma_f32 v9, -v9, v17, v16
	v_div_fmas_f32 v9, v9, v11, v17
	s_waitcnt lgkmcnt(0)
	v_pk_fma_f32 v[16:17], v[10:11], v[6:7], v[6:7] op_sel:[0,1,0] op_sel_hi:[1,0,1]
	v_pk_fma_f32 v[6:7], v[10:11], v[6:7], v[6:7] op_sel:[0,1,0] op_sel_hi:[0,0,1] neg_lo:[1,0,0] neg_hi:[1,0,0]
	v_div_fixup_f32 v8, v9, v8, 1.0
	v_mov_b32_e32 v17, v7
	v_pk_mul_f32 v[10:11], v[8:9], v[16:17] op_sel_hi:[0,1]
.LBB5_16:                               ;   in Loop: Header=BB5_10 Depth=2
	ds_write_b64 v1, v[10:11]
.LBB5_17:                               ;   in Loop: Header=BB5_10 Depth=2
	s_or_b64 exec, exec, s[2:3]
	v_cmp_gt_u32_e32 vcc, s33, v0
	v_cmp_le_i32_e64 s[2:3], s48, v15
	s_and_b64 s[44:45], s[42:43], vcc
	s_and_b64 s[44:45], s[44:45], s[2:3]
	s_waitcnt lgkmcnt(0)
	s_barrier
	s_and_saveexec_b64 s[2:3], s[44:45]
	s_cbranch_execz .LBB5_8
; %bb.18:                               ;   in Loop: Header=BB5_10 Depth=2
	v_lshl_add_u64 v[6:7], v[2:3], 3, v[4:5]
	global_load_dwordx2 v[6:7], v[6:7], off
	v_mov_b32_e32 v2, s47
	ds_read_b64 v[8:9], v2
	ds_read_b64 v[10:11], v1
	s_waitcnt vmcnt(0) lgkmcnt(1)
	v_pk_mul_f32 v[16:17], v[8:9], v[6:7] op_sel:[1,1] op_sel_hi:[0,1]
	v_pk_fma_f32 v[18:19], v[8:9], v[6:7], v[16:17] neg_lo:[0,0,1] neg_hi:[0,0,1]
	v_pk_fma_f32 v[6:7], v[8:9], v[6:7], v[16:17] op_sel_hi:[1,0,1]
	s_nop 0
	v_mov_b32_e32 v19, v7
	s_waitcnt lgkmcnt(0)
	v_pk_add_f32 v[6:7], v[10:11], v[18:19] neg_lo:[0,1] neg_hi:[0,1]
	ds_write_b64 v1, v[6:7]
	s_branch .LBB5_8
.LBB5_19:                               ;   in Loop: Header=BB5_5 Depth=1
	s_add_i32 s33, s46, 0xfffffe00
	s_cmp_lt_i32 s46, 1
	s_cselect_b64 s[2:3], -1, 0
	s_and_b64 vcc, exec, s[2:3]
	s_waitcnt lgkmcnt(0)
	s_barrier
	s_cbranch_vccnz .LBB5_51
; %bb.20:                               ;   in Loop: Header=BB5_5 Depth=1
	v_mad_i64_i32 v[4:5], s[42:43], v13, -8, s[14:15]
	s_mov_b64 s[42:43], 0
	v_mov_b32_e32 v10, v13
	v_mov_b32_e32 v11, v0
	s_mov_b32 s52, s33
                                        ; implicit-def: $sgpr44_sgpr45
	s_branch .LBB5_23
.LBB5_21:                               ;   in Loop: Header=BB5_23 Depth=2
	v_mad_u64_u32 v[8:9], s[48:49], s16, v15, 0
	v_mov_b32_e32 v2, v9
	v_mad_u64_u32 v[16:17], s[48:49], s17, v15, v[2:3]
	v_mov_b32_e32 v9, v16
	v_lshl_add_u64 v[8:9], v[8:9], 3, s[10:11]
	global_load_dwordx2 v[16:17], v[8:9], off
	s_add_i32 s50, s52, 0xfffffe00
	s_cmp_lt_i32 s52, 1
	s_cselect_b64 s[48:49], -1, 0
	s_andn2_b64 s[44:45], s[44:45], exec
	s_and_b64 s[48:49], s[48:49], exec
	v_lshl_add_u64 v[4:5], v[4:5], 0, s[40:41]
	v_add_u32_e32 v10, 0xfffffe00, v10
	s_or_b64 s[44:45], s[44:45], s[48:49]
	s_mov_b32 s52, s50
	s_waitcnt vmcnt(0)
	v_pk_add_f32 v[6:7], v[16:17], v[6:7] neg_lo:[0,1] neg_hi:[0,1]
	global_store_dwordx2 v[8:9], v[6:7], off
.LBB5_22:                               ;   in Loop: Header=BB5_23 Depth=2
	s_or_b64 exec, exec, s[46:47]
	s_and_b64 s[46:47], exec, s[44:45]
	s_or_b64 s[42:43], s[46:47], s[42:43]
	s_andn2_b64 exec, exec, s[42:43]
	s_cbranch_execz .LBB5_50
.LBB5_23:                               ;   Parent Loop BB5_5 Depth=1
                                        ; =>  This Loop Header: Depth=2
                                        ;       Child Loop BB5_26 Depth 3
	v_add_u32_e32 v15, s52, v0
	v_cmp_lt_i32_e32 vcc, -1, v15
	s_or_b64 s[44:45], s[44:45], exec
	s_and_saveexec_b64 s[46:47], vcc
	s_cbranch_execz .LBB5_22
; %bb.24:                               ;   in Loop: Header=BB5_23 Depth=2
	v_mad_u64_u32 v[8:9], s[48:49], s18, v10, v[4:5]
	v_mov_b32_e32 v2, v9
	v_mad_u64_u32 v[6:7], s[48:49], s19, v10, v[2:3]
	v_mov_b32_e32 v2, v3
	v_mov_b32_e32 v9, v6
	v_add_u32_e32 v16, s22, v15
	v_add_u32_e32 v17, 0xfffffdfd, v11
	;; [unrolled: 1-line block ×5, first 2 shown]
	s_mov_b32 s53, 0
	s_movk_i32 s54, 0x3000
	v_mov_b64_e32 v[6:7], v[2:3]
	s_branch .LBB5_26
.LBB5_25:                               ;   in Loop: Header=BB5_26 Depth=3
	s_or_b64 exec, exec, s[48:49]
	s_add_i32 s53, s53, 4
	s_add_i32 s54, s54, 32
	s_cmpk_eq_i32 s53, 0x200
	v_lshl_add_u64 v[8:9], v[8:9], 0, 32
	s_cbranch_scc1 .LBB5_21
.LBB5_26:                               ;   Parent Loop BB5_5 Depth=1
                                        ;     Parent Loop BB5_23 Depth=2
                                        ; =>    This Inner Loop Header: Depth=3
	v_cmp_ne_u32_e32 vcc, s53, v11
	s_add_i32 s55, s23, s53
	s_or_b64 s[48:49], s[38:39], vcc
	s_and_saveexec_b64 s[50:51], s[48:49]
	s_xor_b64 s[48:49], exec, s[50:51]
	s_cbranch_execz .LBB5_30
; %bb.27:                               ;   in Loop: Header=BB5_26 Depth=3
	s_add_i32 s50, s55, 0xfffffe00
	v_cmp_le_i32_e32 vcc, s50, v16
	s_and_saveexec_b64 s[50:51], vcc
	s_cbranch_execz .LBB5_29
; %bb.28:                               ;   in Loop: Header=BB5_26 Depth=3
	global_load_dwordx2 v[20:21], v[8:9], off
	v_mov_b32_e32 v2, s54
	ds_read_b64 v[22:23], v2
	s_waitcnt vmcnt(0) lgkmcnt(0)
	v_pk_mul_f32 v[24:25], v[22:23], v[20:21] op_sel:[1,1] op_sel_hi:[0,1]
	v_pk_fma_f32 v[26:27], v[22:23], v[20:21], v[24:25] neg_lo:[0,0,1] neg_hi:[0,0,1]
	v_pk_fma_f32 v[20:21], v[22:23], v[20:21], v[24:25] op_sel_hi:[1,0,1]
	s_nop 0
	v_mov_b32_e32 v27, v21
	v_pk_add_f32 v[6:7], v[6:7], v[26:27]
.LBB5_29:                               ;   in Loop: Header=BB5_26 Depth=3
	s_or_b64 exec, exec, s[50:51]
.LBB5_30:                               ;   in Loop: Header=BB5_26 Depth=3
	s_andn2_saveexec_b64 s[48:49], s[48:49]
	s_cbranch_execz .LBB5_32
; %bb.31:                               ;   in Loop: Header=BB5_26 Depth=3
	v_mov_b32_e32 v2, s54
	ds_read_b64 v[20:21], v2
	s_waitcnt lgkmcnt(0)
	v_pk_add_f32 v[6:7], v[6:7], v[20:21]
.LBB5_32:                               ;   in Loop: Header=BB5_26 Depth=3
	s_or_b64 exec, exec, s[48:49]
	v_cmp_ne_u32_e32 vcc, s53, v19
	s_or_b64 s[48:49], s[38:39], vcc
	s_and_saveexec_b64 s[50:51], s[48:49]
	s_xor_b64 s[48:49], exec, s[50:51]
	s_cbranch_execz .LBB5_36
; %bb.33:                               ;   in Loop: Header=BB5_26 Depth=3
	s_add_i32 s50, s55, 0xfffffe01
	v_cmp_le_i32_e32 vcc, s50, v16
	s_and_saveexec_b64 s[50:51], vcc
	s_cbranch_execz .LBB5_35
; %bb.34:                               ;   in Loop: Header=BB5_26 Depth=3
	global_load_dwordx2 v[20:21], v[8:9], off offset:8
	v_mov_b32_e32 v2, s54
	ds_read_b64 v[22:23], v2 offset:8
	s_waitcnt vmcnt(0) lgkmcnt(0)
	v_pk_mul_f32 v[24:25], v[22:23], v[20:21] op_sel:[1,1] op_sel_hi:[0,1]
	v_pk_fma_f32 v[26:27], v[22:23], v[20:21], v[24:25] neg_lo:[0,0,1] neg_hi:[0,0,1]
	v_pk_fma_f32 v[20:21], v[22:23], v[20:21], v[24:25] op_sel_hi:[1,0,1]
	s_nop 0
	v_mov_b32_e32 v27, v21
	v_pk_add_f32 v[6:7], v[6:7], v[26:27]
.LBB5_35:                               ;   in Loop: Header=BB5_26 Depth=3
	s_or_b64 exec, exec, s[50:51]
.LBB5_36:                               ;   in Loop: Header=BB5_26 Depth=3
	s_andn2_saveexec_b64 s[48:49], s[48:49]
	s_cbranch_execz .LBB5_38
; %bb.37:                               ;   in Loop: Header=BB5_26 Depth=3
	v_mov_b32_e32 v2, s54
	ds_read_b64 v[20:21], v2 offset:8
	s_waitcnt lgkmcnt(0)
	v_pk_add_f32 v[6:7], v[6:7], v[20:21]
.LBB5_38:                               ;   in Loop: Header=BB5_26 Depth=3
	s_or_b64 exec, exec, s[48:49]
	v_cmp_ne_u32_e32 vcc, s53, v18
	s_or_b64 s[48:49], s[38:39], vcc
	s_and_saveexec_b64 s[50:51], s[48:49]
	s_xor_b64 s[48:49], exec, s[50:51]
	s_cbranch_execz .LBB5_42
; %bb.39:                               ;   in Loop: Header=BB5_26 Depth=3
	s_add_i32 s50, s55, 0xfffffe02
	v_cmp_le_i32_e32 vcc, s50, v16
	s_and_saveexec_b64 s[50:51], vcc
	s_cbranch_execz .LBB5_41
; %bb.40:                               ;   in Loop: Header=BB5_26 Depth=3
	global_load_dwordx2 v[20:21], v[8:9], off offset:16
	v_mov_b32_e32 v2, s54
	ds_read_b64 v[22:23], v2 offset:16
	s_waitcnt vmcnt(0) lgkmcnt(0)
	v_pk_mul_f32 v[24:25], v[22:23], v[20:21] op_sel:[1,1] op_sel_hi:[0,1]
	v_pk_fma_f32 v[26:27], v[22:23], v[20:21], v[24:25] neg_lo:[0,0,1] neg_hi:[0,0,1]
	v_pk_fma_f32 v[20:21], v[22:23], v[20:21], v[24:25] op_sel_hi:[1,0,1]
	s_nop 0
	v_mov_b32_e32 v27, v21
	v_pk_add_f32 v[6:7], v[6:7], v[26:27]
.LBB5_41:                               ;   in Loop: Header=BB5_26 Depth=3
	s_or_b64 exec, exec, s[50:51]
.LBB5_42:                               ;   in Loop: Header=BB5_26 Depth=3
	s_andn2_saveexec_b64 s[48:49], s[48:49]
	s_cbranch_execz .LBB5_44
; %bb.43:                               ;   in Loop: Header=BB5_26 Depth=3
	v_mov_b32_e32 v2, s54
	ds_read_b64 v[20:21], v2 offset:16
	s_waitcnt lgkmcnt(0)
	v_pk_add_f32 v[6:7], v[6:7], v[20:21]
.LBB5_44:                               ;   in Loop: Header=BB5_26 Depth=3
	s_or_b64 exec, exec, s[48:49]
	v_cmp_ne_u32_e32 vcc, s53, v17
	s_or_b64 s[48:49], s[38:39], vcc
	s_and_saveexec_b64 s[50:51], s[48:49]
	s_xor_b64 s[48:49], exec, s[50:51]
	s_cbranch_execz .LBB5_48
; %bb.45:                               ;   in Loop: Header=BB5_26 Depth=3
	s_addk_i32 s55, 0xfe03
	v_cmp_le_i32_e32 vcc, s55, v16
	s_and_saveexec_b64 s[50:51], vcc
	s_cbranch_execz .LBB5_47
; %bb.46:                               ;   in Loop: Header=BB5_26 Depth=3
	global_load_dwordx2 v[20:21], v[8:9], off offset:24
	v_mov_b32_e32 v2, s54
	ds_read_b64 v[22:23], v2 offset:24
	s_waitcnt vmcnt(0) lgkmcnt(0)
	v_pk_mul_f32 v[24:25], v[22:23], v[20:21] op_sel:[1,1] op_sel_hi:[0,1]
	v_pk_fma_f32 v[26:27], v[22:23], v[20:21], v[24:25] neg_lo:[0,0,1] neg_hi:[0,0,1]
	v_pk_fma_f32 v[20:21], v[22:23], v[20:21], v[24:25] op_sel_hi:[1,0,1]
	s_nop 0
	v_mov_b32_e32 v27, v21
	v_pk_add_f32 v[6:7], v[6:7], v[26:27]
.LBB5_47:                               ;   in Loop: Header=BB5_26 Depth=3
	s_or_b64 exec, exec, s[50:51]
.LBB5_48:                               ;   in Loop: Header=BB5_26 Depth=3
	s_andn2_saveexec_b64 s[48:49], s[48:49]
	s_cbranch_execz .LBB5_25
; %bb.49:                               ;   in Loop: Header=BB5_26 Depth=3
	v_mov_b32_e32 v2, s54
	ds_read_b64 v[20:21], v2 offset:24
	s_waitcnt lgkmcnt(0)
	v_pk_add_f32 v[6:7], v[6:7], v[20:21]
	s_branch .LBB5_25
.LBB5_50:                               ;   in Loop: Header=BB5_5 Depth=1
	s_or_b64 exec, exec, s[42:43]
.LBB5_51:                               ;   in Loop: Header=BB5_5 Depth=1
	s_and_saveexec_b64 s[42:43], s[0:1]
	s_cbranch_execz .LBB5_4
; %bb.52:                               ;   in Loop: Header=BB5_5 Depth=1
	v_mad_u64_u32 v[4:5], s[0:1], s16, v14, 0
	ds_read_b64 v[6:7], v1
	v_mov_b32_e32 v2, v5
	v_mad_u64_u32 v[8:9], s[0:1], s17, v14, v[2:3]
	v_mov_b32_e32 v5, v8
	v_lshl_add_u64 v[4:5], v[4:5], 3, s[10:11]
	s_waitcnt lgkmcnt(0)
	global_store_dwordx2 v[4:5], v[6:7], off
	s_branch .LBB5_4
.LBB5_53:
	s_mov_b64 s[0:1], 0
.LBB5_54:
	s_andn2_b64 vcc, exec, s[0:1]
	s_cbranch_vccnz .LBB5_106
; %bb.55:
	s_andn2_b64 vcc, exec, s[12:13]
	s_cbranch_vccnz .LBB5_106
; %bb.56:
	s_lshl_b64 s[14:15], s[8:9], 3
	s_add_u32 s18, s14, -8
	s_addc_u32 s20, s15, -1
	s_ashr_i32 s23, s22, 31
	s_lshl_b64 s[0:1], s[22:23], 3
	s_add_u32 s2, s4, s0
	s_addc_u32 s3, s5, s1
	s_add_u32 s2, s2, s30
	s_addc_u32 s3, s3, s31
	;; [unrolled: 2-line block ×3, first 2 shown]
	v_mov_b64_e32 v[2:3], s[2:3]
	v_mad_u64_u32 v[2:3], s[18:19], s18, v0, v[2:3]
	v_mov_b32_e32 v4, v3
	v_mad_u64_u32 v[4:5], s[18:19], s20, v0, v[4:5]
	s_lshl_b64 s[18:19], s[8:9], 12
	s_add_u32 s20, s28, s30
	s_addc_u32 s23, s29, s31
	s_add_u32 s0, s20, s0
	s_addc_u32 s1, s23, s1
	s_add_u32 s38, s4, s0
	v_or_b32_e32 v18, 0x200, v0
	v_mov_b32_e32 v3, v4
	s_addc_u32 s39, s5, s1
	v_mad_u64_u32 v[4:5], s[0:1], s8, v18, 0
	v_mov_b32_e32 v6, v5
	v_mad_u64_u32 v[6:7], s[0:1], s9, v18, v[6:7]
	s_add_u32 s40, s18, 0x1000
	v_mov_b32_e32 v5, v6
	s_addc_u32 s41, s19, 0
	v_mov_b32_e32 v1, 0x1000
	v_lshl_add_u64 v[4:5], v[4:5], 3, s[2:3]
	s_add_u32 s42, s18, 0xfffff000
	v_lshl_or_b32 v1, v0, 3, v1
	v_lshl_add_u64 v[4:5], v[4:5], 0, 16
	s_addc_u32 s43, s19, -1
	s_mov_b32 s20, 0
	s_xor_b64 s[44:45], s[24:25], -1
	v_mov_b32_e32 v6, 0
	s_branch .LBB5_58
.LBB5_57:                               ;   in Loop: Header=BB5_58 Depth=1
	s_or_b64 exec, exec, s[46:47]
	s_add_u32 s38, s38, s18
	v_lshl_add_u64 v[2:3], v[2:3], 0, s[18:19]
	s_addc_u32 s39, s39, s19
	v_lshl_add_u64 v[4:5], v[4:5], 0, s[40:41]
	v_add_u32_e32 v18, 0x200, v18
	s_and_b64 vcc, exec, s[2:3]
	s_mov_b32 s20, s23
	s_barrier
	s_cbranch_vccnz .LBB5_106
.LBB5_58:                               ; =>This Loop Header: Depth=1
                                        ;     Child Loop BB5_63 Depth 2
                                        ;     Child Loop BB5_76 Depth 2
                                        ;       Child Loop BB5_79 Depth 3
	v_add_u32_e32 v19, s20, v0
	v_cmp_le_i32_e32 vcc, s21, v19
	v_cmp_gt_i32_e64 s[0:1], s21, v19
	s_and_saveexec_b64 s[2:3], s[0:1]
	s_cbranch_execz .LBB5_60
; %bb.59:                               ;   in Loop: Header=BB5_58 Depth=1
	v_mad_u64_u32 v[8:9], s[46:47], s16, v19, 0
	v_mov_b32_e32 v10, v9
	v_mad_u64_u32 v[10:11], s[46:47], s17, v19, v[10:11]
	v_mov_b32_e32 v9, v10
	v_lshl_add_u64 v[8:9], v[8:9], 3, s[10:11]
	global_load_dwordx2 v[8:9], v[8:9], off
	s_waitcnt vmcnt(0)
	ds_write_b64 v1, v[8:9]
.LBB5_60:                               ;   in Loop: Header=BB5_58 Depth=1
	s_or_b64 exec, exec, s[2:3]
	v_subrev_u32_e32 v7, s22, v19
	s_mov_b32 s23, 0
	s_movk_i32 s33, 0x1000
	v_mov_b64_e32 v[8:9], s[38:39]
	s_xor_b64 s[46:47], vcc, -1
	v_mov_b64_e32 v[10:11], v[2:3]
	s_waitcnt lgkmcnt(0)
	s_barrier
	s_branch .LBB5_63
.LBB5_61:                               ;   in Loop: Header=BB5_63 Depth=2
	s_or_b64 exec, exec, s[2:3]
	s_add_i32 s23, s23, 1
	s_add_i32 s33, s33, 8
	s_cmpk_eq_i32 s23, 0x200
	v_lshl_add_u64 v[10:11], v[10:11], 0, 8
	v_lshl_add_u64 v[8:9], v[8:9], 0, s[14:15]
	s_cselect_b64 s[2:3], -1, 0
.LBB5_62:                               ;   in Loop: Header=BB5_63 Depth=2
	s_and_b64 vcc, exec, s[2:3]
	s_cbranch_vccnz .LBB5_72
.LBB5_63:                               ;   Parent Loop BB5_58 Depth=1
                                        ; =>  This Inner Loop Header: Depth=2
	s_add_i32 s50, s20, s23
	s_cmp_ge_i32 s50, s21
	s_mov_b64 s[2:3], -1
	s_cbranch_scc1 .LBB5_62
; %bb.64:                               ;   in Loop: Header=BB5_63 Depth=2
	v_cmp_eq_u32_e32 vcc, s23, v0
	s_and_b64 s[48:49], s[44:45], vcc
	s_and_saveexec_b64 s[2:3], s[48:49]
	s_cbranch_execz .LBB5_70
; %bb.65:                               ;   in Loop: Header=BB5_63 Depth=2
	global_load_dwordx2 v[14:15], v[8:9], off
	ds_read_b64 v[12:13], v1
	s_mov_b64 s[48:49], -1
                                        ; implicit-def: $vgpr16_vgpr17
	s_waitcnt vmcnt(0)
	v_cmp_ngt_f32_e64 s[52:53], |v14|, |v15|
	s_and_b64 vcc, exec, s[52:53]
	s_cbranch_vccz .LBB5_67
; %bb.66:                               ;   in Loop: Header=BB5_63 Depth=2
	v_div_scale_f32 v16, s[48:49], v15, v15, v14
	v_rcp_f32_e32 v17, v16
	v_div_scale_f32 v20, vcc, v14, v15, v14
	v_fma_f32 v21, -v16, v17, 1.0
	v_fmac_f32_e32 v17, v21, v17
	v_mul_f32_e32 v21, v20, v17
	v_fma_f32 v22, -v16, v21, v20
	v_fmac_f32_e32 v21, v22, v17
	v_fma_f32 v16, -v16, v21, v20
	v_div_fmas_f32 v16, v16, v17, v21
	v_div_fixup_f32 v16, v16, v15, v14
	v_fma_f32 v17, v14, v16, v15
	v_div_scale_f32 v20, s[48:49], v17, v17, 1.0
	v_rcp_f32_e32 v21, v20
	s_mov_b64 s[48:49], 0
	v_fma_f32 v22, -v20, v21, 1.0
	v_fmac_f32_e32 v21, v22, v21
	v_div_scale_f32 v22, vcc, 1.0, v17, 1.0
	v_mul_f32_e32 v23, v22, v21
	v_fma_f32 v24, -v20, v23, v22
	v_fmac_f32_e32 v23, v24, v21
	v_fma_f32 v20, -v20, v23, v22
	v_div_fmas_f32 v20, v20, v21, v23
	v_div_fixup_f32 v20, v20, v17, 1.0
	s_waitcnt lgkmcnt(0)
	v_pk_fma_f32 v[22:23], v[16:17], v[12:13], v[12:13] op_sel:[0,0,1] op_sel_hi:[1,1,0]
	v_pk_fma_f32 v[16:17], v[16:17], v[12:13], v[12:13] op_sel:[0,0,1] op_sel_hi:[0,1,0] neg_lo:[0,0,1] neg_hi:[0,0,1]
	v_mov_b32_e32 v23, v17
	v_pk_mul_f32 v[16:17], v[20:21], v[22:23] op_sel_hi:[0,1]
.LBB5_67:                               ;   in Loop: Header=BB5_63 Depth=2
	s_andn2_b64 vcc, exec, s[48:49]
	s_cbranch_vccnz .LBB5_69
; %bb.68:                               ;   in Loop: Header=BB5_63 Depth=2
	v_div_scale_f32 v16, s[48:49], v14, v14, v15
	v_rcp_f32_e32 v17, v16
	v_div_scale_f32 v20, vcc, v15, v14, v15
	v_fma_f32 v21, -v16, v17, 1.0
	v_fmac_f32_e32 v17, v21, v17
	v_mul_f32_e32 v21, v20, v17
	v_fma_f32 v22, -v16, v21, v20
	v_fmac_f32_e32 v21, v22, v17
	v_fma_f32 v16, -v16, v21, v20
	v_div_fmas_f32 v16, v16, v17, v21
	v_div_fixup_f32 v16, v16, v14, v15
	v_fmac_f32_e32 v14, v15, v16
	v_div_scale_f32 v15, s[48:49], v14, v14, 1.0
	v_rcp_f32_e32 v17, v15
	s_nop 0
	v_fma_f32 v20, -v15, v17, 1.0
	v_fmac_f32_e32 v17, v20, v17
	v_div_scale_f32 v20, vcc, 1.0, v14, 1.0
	v_mul_f32_e32 v21, v20, v17
	v_fma_f32 v22, -v15, v21, v20
	v_fmac_f32_e32 v21, v22, v17
	v_fma_f32 v15, -v15, v21, v20
	v_div_fmas_f32 v15, v15, v17, v21
	s_waitcnt lgkmcnt(0)
	v_pk_fma_f32 v[20:21], v[16:17], v[12:13], v[12:13] op_sel:[0,1,0] op_sel_hi:[1,0,1]
	v_pk_fma_f32 v[12:13], v[16:17], v[12:13], v[12:13] op_sel:[0,1,0] op_sel_hi:[0,0,1] neg_lo:[1,0,0] neg_hi:[1,0,0]
	v_div_fixup_f32 v14, v15, v14, 1.0
	v_mov_b32_e32 v21, v13
	v_pk_mul_f32 v[16:17], v[14:15], v[20:21] op_sel_hi:[0,1]
.LBB5_69:                               ;   in Loop: Header=BB5_63 Depth=2
	ds_write_b64 v1, v[16:17]
.LBB5_70:                               ;   in Loop: Header=BB5_63 Depth=2
	s_or_b64 exec, exec, s[2:3]
	v_cmp_lt_u32_e32 vcc, s23, v0
	v_cmp_ge_i32_e64 s[2:3], s50, v7
	s_and_b64 s[48:49], s[46:47], vcc
	s_and_b64 s[48:49], s[48:49], s[2:3]
	s_waitcnt lgkmcnt(0)
	s_barrier
	s_and_saveexec_b64 s[2:3], s[48:49]
	s_cbranch_execz .LBB5_61
; %bb.71:                               ;   in Loop: Header=BB5_63 Depth=2
	global_load_dwordx2 v[12:13], v[10:11], off
	v_mov_b32_e32 v14, s33
	ds_read_b64 v[14:15], v14
	ds_read_b64 v[16:17], v1
	s_waitcnt vmcnt(0) lgkmcnt(1)
	v_pk_mul_f32 v[20:21], v[14:15], v[12:13] op_sel:[1,1] op_sel_hi:[0,1]
	v_pk_fma_f32 v[22:23], v[14:15], v[12:13], v[20:21] neg_lo:[0,0,1] neg_hi:[0,0,1]
	v_pk_fma_f32 v[12:13], v[14:15], v[12:13], v[20:21] op_sel_hi:[1,0,1]
	s_nop 0
	v_mov_b32_e32 v23, v13
	s_waitcnt lgkmcnt(0)
	v_pk_add_f32 v[12:13], v[16:17], v[22:23] neg_lo:[0,1] neg_hi:[0,1]
	ds_write_b64 v1, v[12:13]
	s_branch .LBB5_61
.LBB5_72:                               ;   in Loop: Header=BB5_58 Depth=1
	s_add_i32 s23, s20, 0x200
	s_cmp_ge_i32 s23, s21
	s_cselect_b64 s[2:3], -1, 0
	s_and_b64 vcc, exec, s[2:3]
	s_waitcnt lgkmcnt(0)
	s_barrier
	s_cbranch_vccnz .LBB5_104
; %bb.73:                               ;   in Loop: Header=BB5_58 Depth=1
	v_mad_i64_i32 v[8:9], s[46:47], v18, -8, v[4:5]
	s_mov_b64 s[46:47], 0
	v_mov_b32_e32 v14, v0
	s_mov_b32 s33, s23
                                        ; implicit-def: $sgpr48_sgpr49
	s_branch .LBB5_76
.LBB5_74:                               ;   in Loop: Header=BB5_76 Depth=2
	v_mad_u64_u32 v[12:13], s[52:53], s16, v15, 0
	v_mov_b32_e32 v16, v13
	v_mad_u64_u32 v[16:17], s[52:53], s17, v15, v[16:17]
	v_mov_b32_e32 v13, v16
	v_lshl_add_u64 v[12:13], v[12:13], 3, s[10:11]
	global_load_dwordx2 v[16:17], v[12:13], off
	s_addk_i32 s33, 0x200
	s_cmp_ge_i32 s33, s21
	s_cselect_b64 s[52:53], -1, 0
	s_andn2_b64 s[48:49], s[48:49], exec
	s_and_b64 s[52:53], s[52:53], exec
	v_lshl_add_u64 v[8:9], v[8:9], 0, s[42:43]
	s_or_b64 s[48:49], s[48:49], s[52:53]
	s_waitcnt vmcnt(0)
	v_pk_add_f32 v[10:11], v[16:17], v[10:11] neg_lo:[0,1] neg_hi:[0,1]
	global_store_dwordx2 v[12:13], v[10:11], off
.LBB5_75:                               ;   in Loop: Header=BB5_76 Depth=2
	s_or_b64 exec, exec, s[50:51]
	s_and_b64 s[50:51], exec, s[48:49]
	s_or_b64 s[46:47], s[50:51], s[46:47]
	s_andn2_b64 exec, exec, s[46:47]
	s_cbranch_execz .LBB5_103
.LBB5_76:                               ;   Parent Loop BB5_58 Depth=1
                                        ; =>  This Loop Header: Depth=2
                                        ;       Child Loop BB5_79 Depth 3
	v_add_u32_e32 v15, s33, v0
	v_cmp_gt_i32_e32 vcc, s21, v15
	s_or_b64 s[48:49], s[48:49], exec
	s_and_saveexec_b64 s[50:51], vcc
	s_cbranch_execz .LBB5_75
; %bb.77:                               ;   in Loop: Header=BB5_76 Depth=2
	v_mov_b32_e32 v7, v6
	v_subrev_u32_e32 v16, s22, v15
	v_add_u32_e32 v17, 0x1fd, v14
	v_add_u32_e32 v20, 0x1fe, v14
	;; [unrolled: 1-line block ×4, first 2 shown]
	s_mov_b32 s56, 0
	s_movk_i32 s57, 0x1000
	v_mov_b64_e32 v[12:13], v[8:9]
	v_mov_b64_e32 v[10:11], v[6:7]
	s_branch .LBB5_79
.LBB5_78:                               ;   in Loop: Header=BB5_79 Depth=3
	s_or_b64 exec, exec, s[52:53]
	s_add_i32 s56, s56, 4
	s_add_i32 s57, s57, 32
	s_cmpk_eq_i32 s56, 0x200
	v_lshl_add_u64 v[12:13], v[12:13], 0, 32
	s_cbranch_scc1 .LBB5_74
.LBB5_79:                               ;   Parent Loop BB5_58 Depth=1
                                        ;     Parent Loop BB5_76 Depth=2
                                        ; =>    This Inner Loop Header: Depth=3
	v_cmp_ne_u32_e32 vcc, s56, v14
	s_add_i32 s58, s20, s56
	s_or_b64 s[52:53], s[44:45], vcc
	s_and_saveexec_b64 s[54:55], s[52:53]
	s_xor_b64 s[52:53], exec, s[54:55]
	s_cbranch_execz .LBB5_83
; %bb.80:                               ;   in Loop: Header=BB5_79 Depth=3
	s_cmp_lt_i32 s58, s21
	s_cselect_b64 s[54:55], -1, 0
	v_cmp_ge_i32_e32 vcc, s58, v16
	s_and_b64 s[60:61], s[54:55], vcc
	s_and_saveexec_b64 s[54:55], s[60:61]
	s_cbranch_execz .LBB5_82
; %bb.81:                               ;   in Loop: Header=BB5_79 Depth=3
	global_load_dwordx2 v[22:23], v[12:13], off offset:-16
	v_mov_b32_e32 v7, s57
	ds_read_b64 v[24:25], v7
	s_waitcnt vmcnt(0) lgkmcnt(0)
	v_pk_mul_f32 v[26:27], v[24:25], v[22:23] op_sel:[1,1] op_sel_hi:[0,1]
	v_pk_fma_f32 v[28:29], v[24:25], v[22:23], v[26:27] neg_lo:[0,0,1] neg_hi:[0,0,1]
	v_pk_fma_f32 v[22:23], v[24:25], v[22:23], v[26:27] op_sel_hi:[1,0,1]
	s_nop 0
	v_mov_b32_e32 v29, v23
	v_pk_add_f32 v[10:11], v[10:11], v[28:29]
.LBB5_82:                               ;   in Loop: Header=BB5_79 Depth=3
	s_or_b64 exec, exec, s[54:55]
.LBB5_83:                               ;   in Loop: Header=BB5_79 Depth=3
	s_andn2_saveexec_b64 s[52:53], s[52:53]
	s_cbranch_execz .LBB5_85
; %bb.84:                               ;   in Loop: Header=BB5_79 Depth=3
	v_mov_b32_e32 v7, s57
	ds_read_b64 v[22:23], v7
	s_waitcnt lgkmcnt(0)
	v_pk_add_f32 v[10:11], v[10:11], v[22:23]
.LBB5_85:                               ;   in Loop: Header=BB5_79 Depth=3
	s_or_b64 exec, exec, s[52:53]
	v_cmp_ne_u32_e32 vcc, s56, v21
	s_or_b64 s[52:53], s[44:45], vcc
	s_and_saveexec_b64 s[54:55], s[52:53]
	s_xor_b64 s[52:53], exec, s[54:55]
	s_cbranch_execz .LBB5_89
; %bb.86:                               ;   in Loop: Header=BB5_79 Depth=3
	s_add_i32 s59, s58, 1
	s_cmp_lt_i32 s59, s21
	s_cselect_b64 s[54:55], -1, 0
	v_cmp_ge_i32_e32 vcc, s59, v16
	s_and_b64 s[60:61], s[54:55], vcc
	s_and_saveexec_b64 s[54:55], s[60:61]
	s_cbranch_execz .LBB5_88
; %bb.87:                               ;   in Loop: Header=BB5_79 Depth=3
	global_load_dwordx2 v[22:23], v[12:13], off offset:-8
	v_mov_b32_e32 v7, s57
	ds_read_b64 v[24:25], v7 offset:8
	s_waitcnt vmcnt(0) lgkmcnt(0)
	v_pk_mul_f32 v[26:27], v[24:25], v[22:23] op_sel:[1,1] op_sel_hi:[0,1]
	v_pk_fma_f32 v[28:29], v[24:25], v[22:23], v[26:27] neg_lo:[0,0,1] neg_hi:[0,0,1]
	v_pk_fma_f32 v[22:23], v[24:25], v[22:23], v[26:27] op_sel_hi:[1,0,1]
	s_nop 0
	v_mov_b32_e32 v29, v23
	v_pk_add_f32 v[10:11], v[10:11], v[28:29]
.LBB5_88:                               ;   in Loop: Header=BB5_79 Depth=3
	s_or_b64 exec, exec, s[54:55]
.LBB5_89:                               ;   in Loop: Header=BB5_79 Depth=3
	s_andn2_saveexec_b64 s[52:53], s[52:53]
	s_cbranch_execz .LBB5_91
; %bb.90:                               ;   in Loop: Header=BB5_79 Depth=3
	v_mov_b32_e32 v7, s57
	ds_read_b64 v[22:23], v7 offset:8
	s_waitcnt lgkmcnt(0)
	v_pk_add_f32 v[10:11], v[10:11], v[22:23]
.LBB5_91:                               ;   in Loop: Header=BB5_79 Depth=3
	s_or_b64 exec, exec, s[52:53]
	v_cmp_ne_u32_e32 vcc, s56, v20
	s_or_b64 s[52:53], s[44:45], vcc
	s_and_saveexec_b64 s[54:55], s[52:53]
	s_xor_b64 s[52:53], exec, s[54:55]
	s_cbranch_execz .LBB5_95
; %bb.92:                               ;   in Loop: Header=BB5_79 Depth=3
	s_add_i32 s59, s58, 2
	s_cmp_lt_i32 s59, s21
	s_cselect_b64 s[54:55], -1, 0
	v_cmp_ge_i32_e32 vcc, s59, v16
	s_and_b64 s[60:61], s[54:55], vcc
	s_and_saveexec_b64 s[54:55], s[60:61]
	s_cbranch_execz .LBB5_94
; %bb.93:                               ;   in Loop: Header=BB5_79 Depth=3
	global_load_dwordx2 v[22:23], v[12:13], off
	v_mov_b32_e32 v7, s57
	ds_read_b64 v[24:25], v7 offset:16
	s_waitcnt vmcnt(0) lgkmcnt(0)
	v_pk_mul_f32 v[26:27], v[24:25], v[22:23] op_sel:[1,1] op_sel_hi:[0,1]
	v_pk_fma_f32 v[28:29], v[24:25], v[22:23], v[26:27] neg_lo:[0,0,1] neg_hi:[0,0,1]
	v_pk_fma_f32 v[22:23], v[24:25], v[22:23], v[26:27] op_sel_hi:[1,0,1]
	s_nop 0
	v_mov_b32_e32 v29, v23
	v_pk_add_f32 v[10:11], v[10:11], v[28:29]
.LBB5_94:                               ;   in Loop: Header=BB5_79 Depth=3
	s_or_b64 exec, exec, s[54:55]
.LBB5_95:                               ;   in Loop: Header=BB5_79 Depth=3
	s_andn2_saveexec_b64 s[52:53], s[52:53]
	s_cbranch_execz .LBB5_97
; %bb.96:                               ;   in Loop: Header=BB5_79 Depth=3
	v_mov_b32_e32 v7, s57
	ds_read_b64 v[22:23], v7 offset:16
	s_waitcnt lgkmcnt(0)
	v_pk_add_f32 v[10:11], v[10:11], v[22:23]
.LBB5_97:                               ;   in Loop: Header=BB5_79 Depth=3
	s_or_b64 exec, exec, s[52:53]
	v_cmp_ne_u32_e32 vcc, s56, v17
	s_or_b64 s[52:53], s[44:45], vcc
	s_and_saveexec_b64 s[54:55], s[52:53]
	s_xor_b64 s[52:53], exec, s[54:55]
	s_cbranch_execz .LBB5_101
; %bb.98:                               ;   in Loop: Header=BB5_79 Depth=3
	s_add_i32 s58, s58, 3
	s_cmp_lt_i32 s58, s21
	s_cselect_b64 s[54:55], -1, 0
	v_cmp_ge_i32_e32 vcc, s58, v16
	s_and_b64 s[58:59], s[54:55], vcc
	s_and_saveexec_b64 s[54:55], s[58:59]
	s_cbranch_execz .LBB5_100
; %bb.99:                               ;   in Loop: Header=BB5_79 Depth=3
	global_load_dwordx2 v[22:23], v[12:13], off offset:8
	v_mov_b32_e32 v7, s57
	ds_read_b64 v[24:25], v7 offset:24
	s_waitcnt vmcnt(0) lgkmcnt(0)
	v_pk_mul_f32 v[26:27], v[24:25], v[22:23] op_sel:[1,1] op_sel_hi:[0,1]
	v_pk_fma_f32 v[28:29], v[24:25], v[22:23], v[26:27] neg_lo:[0,0,1] neg_hi:[0,0,1]
	v_pk_fma_f32 v[22:23], v[24:25], v[22:23], v[26:27] op_sel_hi:[1,0,1]
	s_nop 0
	v_mov_b32_e32 v29, v23
	v_pk_add_f32 v[10:11], v[10:11], v[28:29]
.LBB5_100:                              ;   in Loop: Header=BB5_79 Depth=3
	s_or_b64 exec, exec, s[54:55]
.LBB5_101:                              ;   in Loop: Header=BB5_79 Depth=3
	s_andn2_saveexec_b64 s[52:53], s[52:53]
	s_cbranch_execz .LBB5_78
; %bb.102:                              ;   in Loop: Header=BB5_79 Depth=3
	v_mov_b32_e32 v7, s57
	ds_read_b64 v[22:23], v7 offset:24
	s_waitcnt lgkmcnt(0)
	v_pk_add_f32 v[10:11], v[10:11], v[22:23]
	s_branch .LBB5_78
.LBB5_103:                              ;   in Loop: Header=BB5_58 Depth=1
	s_or_b64 exec, exec, s[46:47]
.LBB5_104:                              ;   in Loop: Header=BB5_58 Depth=1
	s_and_saveexec_b64 s[46:47], s[0:1]
	s_cbranch_execz .LBB5_57
; %bb.105:                              ;   in Loop: Header=BB5_58 Depth=1
	v_mad_u64_u32 v[8:9], s[0:1], s16, v19, 0
	ds_read_b64 v[12:13], v1
	v_mov_b32_e32 v10, v9
	v_mad_u64_u32 v[10:11], s[0:1], s17, v19, v[10:11]
	v_mov_b32_e32 v9, v10
	v_lshl_add_u64 v[8:9], v[8:9], 3, s[10:11]
	s_waitcnt lgkmcnt(0)
	global_store_dwordx2 v[8:9], v[12:13], off
	s_branch .LBB5_57
.LBB5_106:
	s_mov_b64 s[0:1], 0
.LBB5_107:
	s_andn2_b64 vcc, exec, s[0:1]
	s_cbranch_vccnz .LBB5_189
; %bb.108:
	s_mov_b64 s[0:1], -1
	s_and_b64 vcc, exec, s[36:37]
	s_cbranch_vccz .LBB5_149
; %bb.109:
	s_andn2_b64 vcc, exec, s[12:13]
	s_cbranch_vccnz .LBB5_148
; %bb.110:
	s_lshl_b64 s[14:15], s[8:9], 12
	s_lshl_b64 s[18:19], s[8:9], 3
	s_add_u32 s0, s28, s18
	s_addc_u32 s1, s29, s19
	s_add_u32 s0, s0, s30
	s_addc_u32 s1, s1, s31
	;; [unrolled: 2-line block ×3, first 2 shown]
	s_add_u32 s36, s0, -8
	s_addc_u32 s37, s1, -1
	s_lshl_b64 s[0:1], s[8:9], 4
	s_add_u32 s20, s0, -16
	v_lshlrev_b32_e32 v1, 3, v0
	v_or_b32_e32 v2, 0x200, v0
	s_addc_u32 s23, s1, -1
	s_mov_b32 s33, 0
	s_mov_b64 s[38:39], 0
	s_xor_b64 s[40:41], s[24:25], -1
	v_mov_b32_e32 v5, 0
	s_branch .LBB5_112
.LBB5_111:                              ;   in Loop: Header=BB5_112 Depth=1
	s_or_b64 exec, exec, s[42:43]
	s_add_u32 s34, s34, s14
	s_addc_u32 s35, s35, s15
	s_add_u32 s38, s38, 0xfffffe00
	s_addc_u32 s39, s39, -1
	s_add_u32 s36, s36, s14
	v_add_u32_e32 v2, 0x200, v2
	s_addc_u32 s37, s37, s15
	s_and_b64 vcc, exec, s[2:3]
	s_mov_b32 s33, s60
	s_barrier
	s_cbranch_vccnz .LBB5_148
.LBB5_112:                              ; =>This Loop Header: Depth=1
                                        ;     Child Loop BB5_116 Depth 2
                                        ;     Child Loop BB5_130 Depth 2
                                        ;       Child Loop BB5_133 Depth 3
	v_add_u32_e32 v12, s33, v0
	v_cmp_le_i32_e32 vcc, s21, v12
	v_cmp_gt_i32_e64 s[0:1], s21, v12
	s_and_saveexec_b64 s[2:3], s[0:1]
	s_cbranch_execz .LBB5_114
; %bb.113:                              ;   in Loop: Header=BB5_112 Depth=1
	v_mad_u64_u32 v[6:7], s[42:43], s16, v12, 0
	v_mov_b32_e32 v4, v7
	v_mad_u64_u32 v[8:9], s[42:43], s17, v12, v[4:5]
	v_mov_b32_e32 v7, v8
	v_lshl_add_u64 v[6:7], v[6:7], 3, s[10:11]
	global_load_dwordx2 v[6:7], v[6:7], off
	s_waitcnt vmcnt(0)
	ds_write_b64 v1, v[6:7]
.LBB5_114:                              ;   in Loop: Header=BB5_112 Depth=1
	s_or_b64 exec, exec, s[2:3]
	v_subrev_u32_e32 v3, s22, v12
	s_mov_b32 s48, 0
	s_xor_b64 s[42:43], vcc, -1
	s_mov_b64 s[44:45], s[34:35]
	v_mov_b32_e32 v4, v0
	s_mov_b32 s49, 0
	s_waitcnt lgkmcnt(0)
	s_barrier
	s_branch .LBB5_116
.LBB5_115:                              ;   in Loop: Header=BB5_116 Depth=2
                                        ; implicit-def: $sgpr49
                                        ; implicit-def: $sgpr48
                                        ; implicit-def: $sgpr44_sgpr45
	s_cbranch_execnz .LBB5_126
.LBB5_116:                              ;   Parent Loop BB5_112 Depth=1
                                        ; =>  This Inner Loop Header: Depth=2
	s_add_i32 s50, s33, s49
	s_cmp_ge_i32 s50, s21
	s_cbranch_scc1 .LBB5_115
; %bb.117:                              ;   in Loop: Header=BB5_116 Depth=2
	v_cmp_eq_u32_e32 vcc, s49, v0
	s_and_b64 s[46:47], s[40:41], vcc
	s_and_saveexec_b64 s[2:3], s[46:47]
	s_cbranch_execz .LBB5_123
; %bb.118:                              ;   in Loop: Header=BB5_116 Depth=2
	global_load_dwordx2 v[8:9], v5, s[44:45]
	ds_read_b64 v[6:7], v1
	s_mov_b64 s[46:47], -1
                                        ; implicit-def: $vgpr10_vgpr11
	s_waitcnt vmcnt(0)
	v_cmp_ngt_f32_e64 s[52:53], |v8|, |v9|
	s_and_b64 vcc, exec, s[52:53]
	s_cbranch_vccz .LBB5_120
; %bb.119:                              ;   in Loop: Header=BB5_116 Depth=2
	v_div_scale_f32 v10, s[46:47], v9, v9, v8
	v_rcp_f32_e32 v11, v10
	v_div_scale_f32 v13, vcc, v8, v9, v8
	v_fma_f32 v14, -v10, v11, 1.0
	v_fmac_f32_e32 v11, v14, v11
	v_mul_f32_e32 v14, v13, v11
	v_fma_f32 v15, -v10, v14, v13
	v_fmac_f32_e32 v14, v15, v11
	v_fma_f32 v10, -v10, v14, v13
	v_div_fmas_f32 v10, v10, v11, v14
	v_div_fixup_f32 v10, v10, v9, v8
	v_fma_f32 v11, v8, v10, v9
	v_div_scale_f32 v13, s[46:47], v11, v11, 1.0
	v_rcp_f32_e32 v14, v13
	s_mov_b64 s[46:47], 0
	v_fma_f32 v15, -v13, v14, 1.0
	v_fmac_f32_e32 v14, v15, v14
	v_div_scale_f32 v15, vcc, 1.0, v11, 1.0
	v_mul_f32_e32 v16, v15, v14
	v_fma_f32 v17, -v13, v16, v15
	v_fmac_f32_e32 v16, v17, v14
	v_fma_f32 v13, -v13, v16, v15
	v_div_fmas_f32 v13, v13, v14, v16
	v_div_fixup_f32 v14, v13, v11, 1.0
	s_waitcnt lgkmcnt(0)
	v_pk_fma_f32 v[16:17], v[10:11], v[6:7], v[6:7] op_sel:[0,0,1] op_sel_hi:[1,1,0]
	v_pk_fma_f32 v[10:11], v[10:11], v[6:7], v[6:7] op_sel:[0,0,1] op_sel_hi:[0,1,0] neg_lo:[0,0,1] neg_hi:[0,0,1]
	v_mov_b32_e32 v17, v11
	v_pk_mul_f32 v[10:11], v[14:15], v[16:17] op_sel_hi:[0,1]
.LBB5_120:                              ;   in Loop: Header=BB5_116 Depth=2
	s_andn2_b64 vcc, exec, s[46:47]
	s_cbranch_vccnz .LBB5_122
; %bb.121:                              ;   in Loop: Header=BB5_116 Depth=2
	v_div_scale_f32 v10, s[46:47], v8, v8, v9
	v_rcp_f32_e32 v11, v10
	v_div_scale_f32 v13, vcc, v9, v8, v9
	v_fma_f32 v14, -v10, v11, 1.0
	v_fmac_f32_e32 v11, v14, v11
	v_mul_f32_e32 v14, v13, v11
	v_fma_f32 v15, -v10, v14, v13
	v_fmac_f32_e32 v14, v15, v11
	v_fma_f32 v10, -v10, v14, v13
	v_div_fmas_f32 v10, v10, v11, v14
	v_div_fixup_f32 v10, v10, v8, v9
	v_fmac_f32_e32 v8, v9, v10
	v_div_scale_f32 v9, s[46:47], v8, v8, 1.0
	v_rcp_f32_e32 v11, v9
	s_nop 0
	v_fma_f32 v13, -v9, v11, 1.0
	v_fmac_f32_e32 v11, v13, v11
	v_div_scale_f32 v13, vcc, 1.0, v8, 1.0
	v_mul_f32_e32 v14, v13, v11
	v_fma_f32 v15, -v9, v14, v13
	v_fmac_f32_e32 v14, v15, v11
	v_fma_f32 v9, -v9, v14, v13
	v_div_fmas_f32 v9, v9, v11, v14
	s_waitcnt lgkmcnt(0)
	v_pk_fma_f32 v[14:15], v[10:11], v[6:7], v[6:7] op_sel:[0,1,0] op_sel_hi:[1,0,1]
	v_pk_fma_f32 v[6:7], v[10:11], v[6:7], v[6:7] op_sel:[0,1,0] op_sel_hi:[0,0,1] neg_lo:[1,0,0] neg_hi:[1,0,0]
	v_div_fixup_f32 v8, v9, v8, 1.0
	v_mov_b32_e32 v15, v7
	v_pk_mul_f32 v[10:11], v[8:9], v[14:15] op_sel_hi:[0,1]
.LBB5_122:                              ;   in Loop: Header=BB5_116 Depth=2
	ds_write_b64 v1, v[10:11]
.LBB5_123:                              ;   in Loop: Header=BB5_116 Depth=2
	s_or_b64 exec, exec, s[2:3]
	v_cmp_lt_u32_e32 vcc, s49, v0
	v_cmp_ge_i32_e64 s[2:3], s50, v3
	s_and_b64 s[46:47], s[42:43], vcc
	s_and_b64 s[46:47], s[46:47], s[2:3]
	s_waitcnt lgkmcnt(0)
	s_barrier
	s_and_saveexec_b64 s[2:3], s[46:47]
	s_cbranch_execz .LBB5_125
; %bb.124:                              ;   in Loop: Header=BB5_116 Depth=2
	v_lshl_add_u64 v[6:7], v[4:5], 3, s[44:45]
	global_load_dwordx2 v[6:7], v[6:7], off
	v_mov_b32_e32 v8, s48
	ds_read_b64 v[8:9], v8
	ds_read_b64 v[10:11], v1
	s_waitcnt vmcnt(0) lgkmcnt(1)
	v_pk_mul_f32 v[14:15], v[8:9], v[6:7] op_sel:[1,1] op_sel_hi:[0,1]
	v_pk_fma_f32 v[16:17], v[8:9], v[6:7], v[14:15] neg_lo:[0,0,1] neg_hi:[0,0,1]
	v_pk_fma_f32 v[6:7], v[8:9], v[6:7], v[14:15] op_sel_hi:[1,0,1]
	s_nop 0
	v_mov_b32_e32 v17, v7
	s_waitcnt lgkmcnt(0)
	v_pk_add_f32 v[6:7], v[10:11], v[16:17] neg_lo:[0,1] neg_hi:[0,1]
	ds_write_b64 v1, v[6:7]
.LBB5_125:                              ;   in Loop: Header=BB5_116 Depth=2
	s_or_b64 exec, exec, s[2:3]
	s_add_i32 s49, s49, 1
	s_add_i32 s48, s48, 8
	s_add_u32 s44, s44, s18
	s_addc_u32 s45, s45, s19
	s_cmpk_eq_i32 s49, 0x200
	v_add_u32_e32 v4, -1, v4
	s_cselect_b64 s[2:3], -1, 0
	s_and_b64 vcc, exec, s[2:3]
	s_cbranch_vccz .LBB5_116
.LBB5_126:                              ;   in Loop: Header=BB5_112 Depth=1
	s_add_i32 s60, s33, 0x200
	s_cmp_ge_i32 s60, s21
	s_cselect_b64 s[2:3], -1, 0
	s_and_b64 vcc, exec, s[2:3]
	s_waitcnt lgkmcnt(0)
	s_barrier
	s_cbranch_vccnz .LBB5_146
; %bb.127:                              ;   in Loop: Header=BB5_112 Depth=1
	v_ashrrev_i32_e32 v3, 31, v2
	v_lshl_add_u64 v[6:7], s[38:39], 0, v[2:3]
	v_lshlrev_b64 v[6:7], 3, v[6:7]
	s_mov_b64 s[42:43], 0
	s_mov_b64 s[44:45], s[34:35]
	v_mov_b32_e32 v3, v0
	s_mov_b64 s[46:47], s[36:37]
	s_mov_b32 s61, s60
                                        ; implicit-def: $sgpr48_sgpr49
	s_branch .LBB5_130
.LBB5_128:                              ;   in Loop: Header=BB5_130 Depth=2
	v_mad_u64_u32 v[14:15], s[52:53], s16, v10, 0
	v_mov_b32_e32 v4, v15
	v_mad_u64_u32 v[10:11], s[52:53], s17, v10, v[4:5]
	v_mov_b32_e32 v15, v10
	v_lshl_add_u64 v[10:11], v[14:15], 3, s[10:11]
	global_load_dwordx2 v[14:15], v[10:11], off
	s_addk_i32 s61, 0x200
	s_add_u32 s46, s46, 0x1000
	s_addc_u32 s47, s47, 0
	s_add_u32 s44, s44, 0x1000
	s_addc_u32 s45, s45, 0
	s_cmp_ge_i32 s61, s21
	s_cselect_b64 s[52:53], -1, 0
	s_andn2_b64 s[48:49], s[48:49], exec
	s_and_b64 s[52:53], s[52:53], exec
	s_or_b64 s[48:49], s[48:49], s[52:53]
	s_waitcnt vmcnt(0)
	v_pk_add_f32 v[8:9], v[14:15], v[8:9] neg_lo:[0,1] neg_hi:[0,1]
	global_store_dwordx2 v[10:11], v[8:9], off
.LBB5_129:                              ;   in Loop: Header=BB5_130 Depth=2
	s_or_b64 exec, exec, s[50:51]
	s_and_b64 s[50:51], exec, s[48:49]
	s_or_b64 s[42:43], s[50:51], s[42:43]
	s_andn2_b64 exec, exec, s[42:43]
	s_cbranch_execz .LBB5_145
.LBB5_130:                              ;   Parent Loop BB5_112 Depth=1
                                        ; =>  This Loop Header: Depth=2
                                        ;       Child Loop BB5_133 Depth 3
	v_add_u32_e32 v10, s61, v0
	v_cmp_gt_i32_e32 vcc, s21, v10
	s_or_b64 s[48:49], s[48:49], exec
	s_and_saveexec_b64 s[50:51], vcc
	s_cbranch_execz .LBB5_129
; %bb.131:                              ;   in Loop: Header=BB5_130 Depth=2
	v_mov_b32_e32 v4, v5
	v_subrev_u32_e32 v11, s22, v10
	v_add_u32_e32 v13, 0x1ff, v3
	v_add_u32_e32 v3, 0x200, v3
	s_mov_b32 s62, 0
	s_mov_b64 s[52:53], s[44:45]
	s_mov_b64 s[54:55], s[46:47]
	s_mov_b32 s63, 0
	v_mov_b64_e32 v[8:9], v[4:5]
	s_branch .LBB5_133
.LBB5_132:                              ;   in Loop: Header=BB5_133 Depth=3
	s_or_b64 exec, exec, s[56:57]
	s_add_i32 s63, s63, 2
	s_add_u32 s54, s54, s20
	s_addc_u32 s55, s55, s23
	s_add_i32 s62, s62, 16
	s_add_u32 s52, s52, s20
	s_addc_u32 s53, s53, s23
	s_cmpk_eq_i32 s63, 0x200
	s_cbranch_scc1 .LBB5_128
.LBB5_133:                              ;   Parent Loop BB5_112 Depth=1
                                        ;     Parent Loop BB5_130 Depth=2
                                        ; =>    This Inner Loop Header: Depth=3
	v_cmp_ne_u32_e32 vcc, s63, v3
	s_add_i32 s64, s33, s63
	s_or_b64 s[56:57], s[40:41], vcc
	s_and_saveexec_b64 s[58:59], s[56:57]
	s_xor_b64 s[56:57], exec, s[58:59]
	s_cbranch_execz .LBB5_137
; %bb.134:                              ;   in Loop: Header=BB5_133 Depth=3
	s_cmp_lt_i32 s64, s21
	s_cselect_b64 s[58:59], -1, 0
	v_cmp_ge_i32_e32 vcc, s64, v11
	s_and_b64 s[66:67], s[58:59], vcc
	s_and_saveexec_b64 s[58:59], s[66:67]
	s_cbranch_execz .LBB5_136
; %bb.135:                              ;   in Loop: Header=BB5_133 Depth=3
	v_lshl_add_u64 v[14:15], s[52:53], 0, v[6:7]
	global_load_dwordx2 v[14:15], v[14:15], off
	v_mov_b32_e32 v4, s62
	ds_read_b64 v[16:17], v4
	s_waitcnt vmcnt(0) lgkmcnt(0)
	v_pk_mul_f32 v[18:19], v[16:17], v[14:15] op_sel:[1,1] op_sel_hi:[0,1]
	v_pk_fma_f32 v[20:21], v[16:17], v[14:15], v[18:19] neg_lo:[0,0,1] neg_hi:[0,0,1]
	v_pk_fma_f32 v[14:15], v[16:17], v[14:15], v[18:19] op_sel_hi:[1,0,1]
	s_nop 0
	v_mov_b32_e32 v21, v15
	v_pk_add_f32 v[8:9], v[8:9], v[20:21]
.LBB5_136:                              ;   in Loop: Header=BB5_133 Depth=3
	s_or_b64 exec, exec, s[58:59]
.LBB5_137:                              ;   in Loop: Header=BB5_133 Depth=3
	s_andn2_saveexec_b64 s[56:57], s[56:57]
	s_cbranch_execz .LBB5_139
; %bb.138:                              ;   in Loop: Header=BB5_133 Depth=3
	v_mov_b32_e32 v4, s62
	ds_read_b64 v[14:15], v4
	s_waitcnt lgkmcnt(0)
	v_pk_add_f32 v[8:9], v[8:9], v[14:15]
.LBB5_139:                              ;   in Loop: Header=BB5_133 Depth=3
	s_or_b64 exec, exec, s[56:57]
	v_cmp_ne_u32_e32 vcc, s63, v13
	s_or_b64 s[56:57], s[40:41], vcc
	s_and_saveexec_b64 s[58:59], s[56:57]
	s_xor_b64 s[56:57], exec, s[58:59]
	s_cbranch_execz .LBB5_143
; %bb.140:                              ;   in Loop: Header=BB5_133 Depth=3
	s_add_i32 s64, s64, 1
	s_cmp_lt_i32 s64, s21
	s_cselect_b64 s[58:59], -1, 0
	v_cmp_ge_i32_e32 vcc, s64, v11
	s_and_b64 s[64:65], s[58:59], vcc
	s_and_saveexec_b64 s[58:59], s[64:65]
	s_cbranch_execz .LBB5_142
; %bb.141:                              ;   in Loop: Header=BB5_133 Depth=3
	v_lshl_add_u64 v[14:15], s[54:55], 0, v[6:7]
	global_load_dwordx2 v[14:15], v[14:15], off
	v_mov_b32_e32 v4, s62
	ds_read_b64 v[16:17], v4 offset:8
	s_waitcnt vmcnt(0) lgkmcnt(0)
	v_pk_mul_f32 v[18:19], v[16:17], v[14:15] op_sel:[1,1] op_sel_hi:[0,1]
	v_pk_fma_f32 v[20:21], v[16:17], v[14:15], v[18:19] neg_lo:[0,0,1] neg_hi:[0,0,1]
	v_pk_fma_f32 v[14:15], v[16:17], v[14:15], v[18:19] op_sel_hi:[1,0,1]
	s_nop 0
	v_mov_b32_e32 v21, v15
	v_pk_add_f32 v[8:9], v[8:9], v[20:21]
.LBB5_142:                              ;   in Loop: Header=BB5_133 Depth=3
	s_or_b64 exec, exec, s[58:59]
.LBB5_143:                              ;   in Loop: Header=BB5_133 Depth=3
	s_andn2_saveexec_b64 s[56:57], s[56:57]
	s_cbranch_execz .LBB5_132
; %bb.144:                              ;   in Loop: Header=BB5_133 Depth=3
	v_mov_b32_e32 v4, s62
	ds_read_b64 v[14:15], v4 offset:8
	s_waitcnt lgkmcnt(0)
	v_pk_add_f32 v[8:9], v[8:9], v[14:15]
	s_branch .LBB5_132
.LBB5_145:                              ;   in Loop: Header=BB5_112 Depth=1
	s_or_b64 exec, exec, s[42:43]
.LBB5_146:                              ;   in Loop: Header=BB5_112 Depth=1
	s_and_saveexec_b64 s[42:43], s[0:1]
	s_cbranch_execz .LBB5_111
; %bb.147:                              ;   in Loop: Header=BB5_112 Depth=1
	v_mad_u64_u32 v[6:7], s[0:1], s16, v12, 0
	ds_read_b64 v[8:9], v1
	v_mov_b32_e32 v4, v7
	v_mad_u64_u32 v[10:11], s[0:1], s17, v12, v[4:5]
	v_mov_b32_e32 v7, v10
	v_lshl_add_u64 v[6:7], v[6:7], 3, s[10:11]
	s_waitcnt lgkmcnt(0)
	global_store_dwordx2 v[6:7], v[8:9], off
	s_branch .LBB5_111
.LBB5_148:
	s_mov_b64 s[0:1], 0
.LBB5_149:
	s_andn2_b64 vcc, exec, s[0:1]
	s_cbranch_vccnz .LBB5_189
; %bb.150:
	s_andn2_b64 vcc, exec, s[12:13]
	s_cbranch_vccnz .LBB5_189
; %bb.151:
	s_add_i32 s34, s21, 0xfffffe00
	s_add_i32 s12, s21, -1
	s_add_u32 s2, s28, s30
	s_addc_u32 s3, s29, s31
	s_ashr_i32 s23, s22, 31
	s_lshl_b64 s[0:1], s[22:23], 3
	s_add_u32 s2, s2, s0
	s_addc_u32 s3, s3, s1
	s_ashr_i32 s13, s12, 31
	s_lshl_b64 s[0:1], s[12:13], 3
	s_sub_u32 s0, s2, s0
	s_subb_u32 s1, s3, s1
	s_add_u32 s14, s4, s0
	s_addc_u32 s15, s5, s1
	s_lshl_b64 s[18:19], s[8:9], 3
	s_add_u32 s13, s18, 8
	s_addc_u32 s20, s19, 0
	s_add_u32 s0, s6, s26
	s_addc_u32 s1, s7, s27
	;; [unrolled: 2-line block ×3, first 2 shown]
	s_ashr_i32 s3, s21, 31
	s_mov_b32 s2, s21
	s_lshl_b64 s[0:1], s[0:1], 3
	s_lshl_b64 s[2:3], s[2:3], 3
	s_sub_u32 s0, s0, s2
	s_subb_u32 s1, s1, s3
	s_add_u32 s0, s4, s0
	s_addc_u32 s1, s5, s1
	s_add_u32 s4, s0, 0xff8
	s_addc_u32 s5, s1, 0
	s_add_i32 s23, s21, 0xfffffe01
	s_add_u32 s33, s0, 0x1000
	s_addc_u32 s40, s1, 0
	s_lshl_b64 s[0:1], s[8:9], 4
	v_mov_b32_e32 v1, 0x2000
	v_add_u32_e32 v3, s21, v0
	s_add_u32 s41, s0, -16
	v_lshl_or_b32 v1, v0, 3, v1
	v_add_u32_e32 v2, 0xfffffe00, v3
	v_add_u32_e32 v16, 0xfffffc00, v3
	s_addc_u32 s42, s1, -1
	v_mov_b32_e32 v5, 0
	s_xor_b64 s[6:7], s[24:25], -1
	s_branch .LBB5_153
.LBB5_152:                              ;   in Loop: Header=BB5_153 Depth=1
	s_or_b64 exec, exec, s[8:9]
	s_addk_i32 s12, 0xfe00
	s_add_u32 s14, s14, 0x1000
	s_addc_u32 s15, s15, 0
	s_addk_i32 s21, 0xfe00
	s_add_u32 s4, s4, 0x1000
	s_addc_u32 s5, s5, 0
	s_addk_i32 s23, 0xfe00
	s_add_u32 s33, s33, 0x1000
	v_add_u32_e32 v2, 0xfffffe00, v2
	v_add_u32_e32 v16, 0xfffffe00, v16
	s_addc_u32 s40, s40, 0
	s_and_b64 vcc, exec, s[2:3]
	s_mov_b32 s34, s43
	s_barrier
	s_cbranch_vccnz .LBB5_189
.LBB5_153:                              ; =>This Loop Header: Depth=1
                                        ;     Child Loop BB5_158 Depth 2
                                        ;     Child Loop BB5_171 Depth 2
                                        ;       Child Loop BB5_174 Depth 3
	v_add_u32_e32 v17, s34, v0
	v_cmp_gt_i32_e32 vcc, 0, v17
	v_cmp_lt_i32_e64 s[0:1], -1, v17
	s_and_saveexec_b64 s[2:3], s[0:1]
	s_cbranch_execz .LBB5_155
; %bb.154:                              ;   in Loop: Header=BB5_153 Depth=1
	v_mad_u64_u32 v[6:7], s[8:9], s16, v17, 0
	v_mov_b32_e32 v4, v7
	v_mad_u64_u32 v[8:9], s[8:9], s17, v17, v[4:5]
	v_mov_b32_e32 v7, v8
	v_lshl_add_u64 v[6:7], v[6:7], 3, s[10:11]
	global_load_dwordx2 v[6:7], v[6:7], off
	s_waitcnt vmcnt(0)
	ds_write_b64 v1, v[6:7]
.LBB5_155:                              ;   in Loop: Header=BB5_153 Depth=1
	s_or_b64 exec, exec, s[2:3]
	v_mov_b32_e32 v3, v5
	v_mov_b64_e32 v[6:7], s[14:15]
	v_lshl_add_u64 v[8:9], v[2:3], 3, s[14:15]
	v_add_u32_e32 v3, s22, v17
	s_movk_i32 s26, 0x1ff
	s_movk_i32 s27, 0x2ff8
	s_xor_b64 s[8:9], vcc, -1
	s_mov_b32 s28, s12
	s_waitcnt lgkmcnt(0)
	s_barrier
	s_branch .LBB5_158
.LBB5_156:                              ;   in Loop: Header=BB5_158 Depth=2
	s_or_b64 exec, exec, s[2:3]
	s_add_i32 s26, s26, -1
	s_add_i32 s27, s27, -8
	;; [unrolled: 1-line block ×3, first 2 shown]
	s_cmp_eq_u32 s26, -1
	v_lshl_add_u64 v[8:9], v[8:9], 0, 8
	v_lshl_add_u64 v[6:7], v[6:7], 0, 8
	s_cselect_b64 s[2:3], -1, 0
.LBB5_157:                              ;   in Loop: Header=BB5_158 Depth=2
	s_and_b64 vcc, exec, s[2:3]
	s_cbranch_vccnz .LBB5_167
.LBB5_158:                              ;   Parent Loop BB5_153 Depth=1
                                        ; =>  This Inner Loop Header: Depth=2
	s_add_i32 s29, s12, s26
	s_addk_i32 s29, 0xfe01
	s_cmp_lt_i32 s29, 0
	s_mov_b64 s[2:3], -1
	s_cbranch_scc1 .LBB5_157
; %bb.159:                              ;   in Loop: Header=BB5_158 Depth=2
	v_cmp_eq_u32_e32 vcc, s26, v0
	s_and_b64 s[24:25], s[6:7], vcc
	s_and_saveexec_b64 s[2:3], s[24:25]
	s_cbranch_execz .LBB5_165
; %bb.160:                              ;   in Loop: Header=BB5_158 Depth=2
	s_mul_i32 s24, s20, s28
	s_mul_hi_u32 s25, s13, s28
	s_add_i32 s25, s25, s24
	s_mul_i32 s24, s13, s28
	v_lshl_add_u64 v[10:11], v[6:7], 0, s[24:25]
	global_load_dwordx2 v[12:13], v[10:11], off
	ds_read_b64 v[10:11], v1
	s_mov_b64 s[24:25], -1
                                        ; implicit-def: $vgpr14_vgpr15
	s_waitcnt vmcnt(0)
	v_cmp_ngt_f32_e64 s[30:31], |v12|, |v13|
	s_and_b64 vcc, exec, s[30:31]
	s_cbranch_vccz .LBB5_162
; %bb.161:                              ;   in Loop: Header=BB5_158 Depth=2
	v_div_scale_f32 v4, s[24:25], v13, v13, v12
	v_rcp_f32_e32 v14, v4
	v_div_scale_f32 v15, vcc, v12, v13, v12
	v_fma_f32 v18, -v4, v14, 1.0
	v_fmac_f32_e32 v14, v18, v14
	v_mul_f32_e32 v18, v15, v14
	v_fma_f32 v19, -v4, v18, v15
	v_fmac_f32_e32 v18, v19, v14
	v_fma_f32 v4, -v4, v18, v15
	v_div_fmas_f32 v4, v4, v14, v18
	v_div_fixup_f32 v4, v4, v13, v12
	v_fma_f32 v14, v12, v4, v13
	v_div_scale_f32 v15, s[24:25], v14, v14, 1.0
	v_rcp_f32_e32 v18, v15
	s_mov_b64 s[24:25], 0
	v_fma_f32 v19, -v15, v18, 1.0
	v_fmac_f32_e32 v18, v19, v18
	v_div_scale_f32 v19, vcc, 1.0, v14, 1.0
	v_mul_f32_e32 v20, v19, v18
	v_fma_f32 v21, -v15, v20, v19
	v_fmac_f32_e32 v20, v21, v18
	v_fma_f32 v15, -v15, v20, v19
	v_div_fmas_f32 v15, v15, v18, v20
	s_waitcnt lgkmcnt(0)
	v_pk_fma_f32 v[18:19], v[4:5], v[10:11], v[10:11] op_sel:[0,0,1] op_sel_hi:[1,1,0]
	v_pk_fma_f32 v[20:21], v[4:5], v[10:11], v[10:11] op_sel:[0,0,1] op_sel_hi:[0,1,0] neg_lo:[0,0,1] neg_hi:[0,0,1]
	v_div_fixup_f32 v14, v15, v14, 1.0
	v_mov_b32_e32 v19, v21
	v_pk_mul_f32 v[14:15], v[14:15], v[18:19] op_sel_hi:[0,1]
.LBB5_162:                              ;   in Loop: Header=BB5_158 Depth=2
	s_andn2_b64 vcc, exec, s[24:25]
	s_cbranch_vccnz .LBB5_164
; %bb.163:                              ;   in Loop: Header=BB5_158 Depth=2
	v_div_scale_f32 v4, s[24:25], v12, v12, v13
	v_rcp_f32_e32 v14, v4
	v_div_scale_f32 v15, vcc, v13, v12, v13
	v_fma_f32 v18, -v4, v14, 1.0
	v_fmac_f32_e32 v14, v18, v14
	v_mul_f32_e32 v18, v15, v14
	v_fma_f32 v19, -v4, v18, v15
	v_fmac_f32_e32 v18, v19, v14
	v_fma_f32 v4, -v4, v18, v15
	v_div_fmas_f32 v4, v4, v14, v18
	v_div_fixup_f32 v4, v4, v12, v13
	v_fmac_f32_e32 v12, v13, v4
	v_div_scale_f32 v13, s[24:25], v12, v12, 1.0
	v_rcp_f32_e32 v14, v13
	s_nop 0
	v_fma_f32 v15, -v13, v14, 1.0
	v_fmac_f32_e32 v14, v15, v14
	v_div_scale_f32 v15, vcc, 1.0, v12, 1.0
	v_mul_f32_e32 v18, v15, v14
	v_fma_f32 v19, -v13, v18, v15
	v_fmac_f32_e32 v18, v19, v14
	v_fma_f32 v13, -v13, v18, v15
	v_div_fmas_f32 v13, v13, v14, v18
	s_waitcnt lgkmcnt(0)
	v_pk_fma_f32 v[14:15], v[4:5], v[10:11], v[10:11] op_sel:[0,1,0] op_sel_hi:[1,0,1]
	v_pk_fma_f32 v[10:11], v[4:5], v[10:11], v[10:11] op_sel:[0,1,0] op_sel_hi:[0,0,1] neg_lo:[1,0,0] neg_hi:[1,0,0]
	v_div_fixup_f32 v12, v13, v12, 1.0
	v_mov_b32_e32 v15, v11
	v_pk_mul_f32 v[14:15], v[12:13], v[14:15] op_sel_hi:[0,1]
.LBB5_164:                              ;   in Loop: Header=BB5_158 Depth=2
	ds_write_b64 v1, v[14:15]
.LBB5_165:                              ;   in Loop: Header=BB5_158 Depth=2
	s_or_b64 exec, exec, s[2:3]
	v_cmp_gt_u32_e32 vcc, s26, v0
	v_cmp_le_i32_e64 s[2:3], s29, v3
	s_and_b64 s[24:25], s[8:9], vcc
	s_and_b64 s[24:25], s[24:25], s[2:3]
	s_waitcnt lgkmcnt(0)
	s_barrier
	s_and_saveexec_b64 s[2:3], s[24:25]
	s_cbranch_execz .LBB5_156
; %bb.166:                              ;   in Loop: Header=BB5_158 Depth=2
	v_mov_b32_e32 v4, s28
	v_mad_u64_u32 v[10:11], s[24:25], s18, v4, v[8:9]
	s_mul_i32 s24, s19, s28
	s_nop 0
	v_add_u32_e32 v11, s24, v11
	global_load_dwordx2 v[10:11], v[10:11], off
	v_mov_b32_e32 v4, s27
	ds_read_b64 v[12:13], v4
	ds_read_b64 v[14:15], v1
	s_waitcnt vmcnt(0) lgkmcnt(1)
	v_pk_mul_f32 v[18:19], v[12:13], v[10:11] op_sel:[1,1] op_sel_hi:[0,1]
	v_pk_fma_f32 v[20:21], v[12:13], v[10:11], v[18:19] neg_lo:[0,0,1] neg_hi:[0,0,1]
	v_pk_fma_f32 v[10:11], v[12:13], v[10:11], v[18:19] op_sel_hi:[1,0,1]
	s_nop 0
	v_mov_b32_e32 v21, v11
	s_waitcnt lgkmcnt(0)
	v_pk_add_f32 v[10:11], v[14:15], v[20:21] neg_lo:[0,1] neg_hi:[0,1]
	ds_write_b64 v1, v[10:11]
	s_branch .LBB5_156
.LBB5_167:                              ;   in Loop: Header=BB5_153 Depth=1
	s_add_i32 s43, s34, 0xfffffe00
	s_cmp_lt_i32 s34, 1
	s_cselect_b64 s[2:3], -1, 0
	s_and_b64 vcc, exec, s[2:3]
	s_waitcnt lgkmcnt(0)
	s_barrier
	s_cbranch_vccnz .LBB5_187
; %bb.168:                              ;   in Loop: Header=BB5_153 Depth=1
	s_mul_i32 s8, s19, s34
	s_mul_hi_u32 s9, s18, s34
	s_add_i32 s9, s9, s8
	s_mul_i32 s8, s18, s34
	s_add_u32 s8, s33, s8
	s_addc_u32 s9, s40, s9
	s_mov_b64 s[24:25], 0
	v_mov_b32_e32 v4, v16
	v_mov_b32_e32 v3, v0
	s_mov_b32 s44, s43
                                        ; implicit-def: $sgpr26_sgpr27
	s_branch .LBB5_171
.LBB5_169:                              ;   in Loop: Header=BB5_171 Depth=2
	v_mad_u64_u32 v[8:9], s[30:31], s16, v10, 0
	v_mov_b32_e32 v12, v9
	v_mad_u64_u32 v[10:11], s[30:31], s17, v10, v[12:13]
	v_mov_b32_e32 v9, v10
	v_lshl_add_u64 v[8:9], v[8:9], 3, s[10:11]
	global_load_dwordx2 v[10:11], v[8:9], off
	s_add_i32 s34, s44, 0xfffffe00
	s_cmp_lt_i32 s44, 1
	s_cselect_b64 s[30:31], -1, 0
	s_andn2_b64 s[26:27], s[26:27], exec
	s_and_b64 s[30:31], s[30:31], exec
	v_add_u32_e32 v4, 0xfffffe00, v4
	s_or_b64 s[26:27], s[26:27], s[30:31]
	s_mov_b32 s44, s34
	s_waitcnt vmcnt(0)
	v_pk_add_f32 v[6:7], v[10:11], v[6:7] neg_lo:[0,1] neg_hi:[0,1]
	global_store_dwordx2 v[8:9], v[6:7], off
.LBB5_170:                              ;   in Loop: Header=BB5_171 Depth=2
	s_or_b64 exec, exec, s[28:29]
	s_and_b64 s[28:29], exec, s[26:27]
	s_or_b64 s[24:25], s[28:29], s[24:25]
	s_andn2_b64 exec, exec, s[24:25]
	s_cbranch_execz .LBB5_186
.LBB5_171:                              ;   Parent Loop BB5_153 Depth=1
                                        ; =>  This Loop Header: Depth=2
                                        ;       Child Loop BB5_174 Depth 3
	v_add_u32_e32 v10, s44, v0
	v_cmp_lt_i32_e32 vcc, -1, v10
	s_or_b64 s[26:27], s[26:27], exec
	s_and_saveexec_b64 s[28:29], vcc
	s_cbranch_execz .LBB5_170
; %bb.172:                              ;   in Loop: Header=BB5_171 Depth=2
	v_lshlrev_b64 v[8:9], 3, v[4:5]
	v_add_u32_e32 v11, s22, v10
	v_add_u32_e32 v12, 0xfffffdff, v3
	;; [unrolled: 1-line block ×3, first 2 shown]
	v_mov_b32_e32 v6, v5
	v_mov_b32_e32 v7, v5
	s_mov_b32 s45, 0
	s_movk_i32 s46, 0x2000
	s_mov_b64 s[30:31], s[8:9]
	s_mov_b32 s47, s23
	s_mov_b64 s[34:35], s[4:5]
	s_branch .LBB5_174
.LBB5_173:                              ;   in Loop: Header=BB5_174 Depth=3
	s_or_b64 exec, exec, s[36:37]
	s_add_i32 s45, s45, 2
	s_add_i32 s46, s46, 16
	s_add_u32 s34, s34, -16
	s_addc_u32 s35, s35, -1
	s_add_i32 s47, s47, 2
	s_add_u32 s30, s30, s41
	s_addc_u32 s31, s31, s42
	s_cmpk_eq_i32 s45, 0x200
	s_cbranch_scc1 .LBB5_169
.LBB5_174:                              ;   Parent Loop BB5_153 Depth=1
                                        ;     Parent Loop BB5_171 Depth=2
                                        ; =>    This Inner Loop Header: Depth=3
	v_cmp_ne_u32_e32 vcc, s45, v3
	s_add_i32 s48, s21, s45
	s_or_b64 s[36:37], s[6:7], vcc
	s_and_saveexec_b64 s[38:39], s[36:37]
	s_xor_b64 s[36:37], exec, s[38:39]
	s_cbranch_execz .LBB5_178
; %bb.175:                              ;   in Loop: Header=BB5_174 Depth=3
	s_add_i32 s38, s48, 0xfffffe00
	v_cmp_le_i32_e32 vcc, s38, v11
	s_and_saveexec_b64 s[38:39], vcc
	s_cbranch_execz .LBB5_177
; %bb.176:                              ;   in Loop: Header=BB5_174 Depth=3
	v_lshl_add_u64 v[14:15], s[30:31], 0, v[8:9]
	global_load_dwordx2 v[14:15], v[14:15], off
	v_mov_b32_e32 v13, s46
	ds_read_b64 v[18:19], v13
	s_waitcnt vmcnt(0) lgkmcnt(0)
	v_pk_mul_f32 v[20:21], v[18:19], v[14:15] op_sel:[1,1] op_sel_hi:[0,1]
	v_pk_fma_f32 v[22:23], v[18:19], v[14:15], v[20:21] neg_lo:[0,0,1] neg_hi:[0,0,1]
	v_pk_fma_f32 v[14:15], v[18:19], v[14:15], v[20:21] op_sel_hi:[1,0,1]
	s_nop 0
	v_mov_b32_e32 v23, v15
	v_pk_add_f32 v[6:7], v[6:7], v[22:23]
.LBB5_177:                              ;   in Loop: Header=BB5_174 Depth=3
	s_or_b64 exec, exec, s[38:39]
.LBB5_178:                              ;   in Loop: Header=BB5_174 Depth=3
	s_andn2_saveexec_b64 s[36:37], s[36:37]
	s_cbranch_execz .LBB5_180
; %bb.179:                              ;   in Loop: Header=BB5_174 Depth=3
	v_mov_b32_e32 v13, s46
	ds_read_b64 v[14:15], v13
	s_waitcnt lgkmcnt(0)
	v_pk_add_f32 v[6:7], v[6:7], v[14:15]
.LBB5_180:                              ;   in Loop: Header=BB5_174 Depth=3
	s_or_b64 exec, exec, s[36:37]
	v_cmp_ne_u32_e32 vcc, s45, v12
	s_or_b64 s[36:37], s[6:7], vcc
	s_and_saveexec_b64 s[38:39], s[36:37]
	s_xor_b64 s[36:37], exec, s[38:39]
	s_cbranch_execz .LBB5_184
; %bb.181:                              ;   in Loop: Header=BB5_174 Depth=3
	s_addk_i32 s48, 0xfe01
	v_cmp_le_i32_e32 vcc, s48, v11
	s_and_saveexec_b64 s[38:39], vcc
	s_cbranch_execz .LBB5_183
; %bb.182:                              ;   in Loop: Header=BB5_174 Depth=3
	s_mul_i32 s48, s19, s47
	s_mul_hi_u32 s49, s18, s47
	s_add_i32 s49, s49, s48
	s_mul_i32 s48, s18, s47
	s_add_u32 s48, s34, s48
	s_addc_u32 s49, s35, s49
	v_lshl_add_u64 v[14:15], s[48:49], 0, v[8:9]
	global_load_dwordx2 v[14:15], v[14:15], off
	v_mov_b32_e32 v13, s46
	ds_read_b64 v[18:19], v13 offset:8
	s_waitcnt vmcnt(0) lgkmcnt(0)
	v_pk_mul_f32 v[20:21], v[18:19], v[14:15] op_sel:[1,1] op_sel_hi:[0,1]
	v_pk_fma_f32 v[22:23], v[18:19], v[14:15], v[20:21] neg_lo:[0,0,1] neg_hi:[0,0,1]
	v_pk_fma_f32 v[14:15], v[18:19], v[14:15], v[20:21] op_sel_hi:[1,0,1]
	s_nop 0
	v_mov_b32_e32 v23, v15
	v_pk_add_f32 v[6:7], v[6:7], v[22:23]
.LBB5_183:                              ;   in Loop: Header=BB5_174 Depth=3
	s_or_b64 exec, exec, s[38:39]
.LBB5_184:                              ;   in Loop: Header=BB5_174 Depth=3
	s_andn2_saveexec_b64 s[36:37], s[36:37]
	s_cbranch_execz .LBB5_173
; %bb.185:                              ;   in Loop: Header=BB5_174 Depth=3
	v_mov_b32_e32 v13, s46
	ds_read_b64 v[14:15], v13 offset:8
	s_waitcnt lgkmcnt(0)
	v_pk_add_f32 v[6:7], v[6:7], v[14:15]
	s_branch .LBB5_173
.LBB5_186:                              ;   in Loop: Header=BB5_153 Depth=1
	s_or_b64 exec, exec, s[24:25]
.LBB5_187:                              ;   in Loop: Header=BB5_153 Depth=1
	s_and_saveexec_b64 s[8:9], s[0:1]
	s_cbranch_execz .LBB5_152
; %bb.188:                              ;   in Loop: Header=BB5_153 Depth=1
	v_mad_u64_u32 v[6:7], s[0:1], s16, v17, 0
	ds_read_b64 v[8:9], v1
	v_mov_b32_e32 v4, v7
	v_mad_u64_u32 v[10:11], s[0:1], s17, v17, v[4:5]
	v_mov_b32_e32 v7, v10
	v_lshl_add_u64 v[6:7], v[6:7], 3, s[10:11]
	s_waitcnt lgkmcnt(0)
	global_store_dwordx2 v[6:7], v[8:9], off
	s_branch .LBB5_152
.LBB5_189:
	s_endpgm
	.section	.rodata,"a",@progbits
	.p2align	6, 0x0
	.amdhsa_kernel _ZL19rocblas_tbsv_kernelILb0ELi512EPK19rocblas_complex_numIfEPS1_Ev18rocblas_operation_bbiiT1_lllT2_lll
		.amdhsa_group_segment_fixed_size 16384
		.amdhsa_private_segment_fixed_size 0
		.amdhsa_kernarg_size 80
		.amdhsa_user_sgpr_count 2
		.amdhsa_user_sgpr_dispatch_ptr 0
		.amdhsa_user_sgpr_queue_ptr 0
		.amdhsa_user_sgpr_kernarg_segment_ptr 1
		.amdhsa_user_sgpr_dispatch_id 0
		.amdhsa_user_sgpr_kernarg_preload_length 0
		.amdhsa_user_sgpr_kernarg_preload_offset 0
		.amdhsa_user_sgpr_private_segment_size 0
		.amdhsa_uses_dynamic_stack 0
		.amdhsa_enable_private_segment 0
		.amdhsa_system_sgpr_workgroup_id_x 1
		.amdhsa_system_sgpr_workgroup_id_y 0
		.amdhsa_system_sgpr_workgroup_id_z 0
		.amdhsa_system_sgpr_workgroup_info 0
		.amdhsa_system_vgpr_workitem_id 0
		.amdhsa_next_free_vgpr 30
		.amdhsa_next_free_sgpr 68
		.amdhsa_accum_offset 32
		.amdhsa_reserve_vcc 1
		.amdhsa_float_round_mode_32 0
		.amdhsa_float_round_mode_16_64 0
		.amdhsa_float_denorm_mode_32 3
		.amdhsa_float_denorm_mode_16_64 3
		.amdhsa_dx10_clamp 1
		.amdhsa_ieee_mode 1
		.amdhsa_fp16_overflow 0
		.amdhsa_tg_split 0
		.amdhsa_exception_fp_ieee_invalid_op 0
		.amdhsa_exception_fp_denorm_src 0
		.amdhsa_exception_fp_ieee_div_zero 0
		.amdhsa_exception_fp_ieee_overflow 0
		.amdhsa_exception_fp_ieee_underflow 0
		.amdhsa_exception_fp_ieee_inexact 0
		.amdhsa_exception_int_div_zero 0
	.end_amdhsa_kernel
	.section	.text._ZL19rocblas_tbsv_kernelILb0ELi512EPK19rocblas_complex_numIfEPS1_Ev18rocblas_operation_bbiiT1_lllT2_lll,"axG",@progbits,_ZL19rocblas_tbsv_kernelILb0ELi512EPK19rocblas_complex_numIfEPS1_Ev18rocblas_operation_bbiiT1_lllT2_lll,comdat
.Lfunc_end5:
	.size	_ZL19rocblas_tbsv_kernelILb0ELi512EPK19rocblas_complex_numIfEPS1_Ev18rocblas_operation_bbiiT1_lllT2_lll, .Lfunc_end5-_ZL19rocblas_tbsv_kernelILb0ELi512EPK19rocblas_complex_numIfEPS1_Ev18rocblas_operation_bbiiT1_lllT2_lll
                                        ; -- End function
	.set _ZL19rocblas_tbsv_kernelILb0ELi512EPK19rocblas_complex_numIfEPS1_Ev18rocblas_operation_bbiiT1_lllT2_lll.num_vgpr, 30
	.set _ZL19rocblas_tbsv_kernelILb0ELi512EPK19rocblas_complex_numIfEPS1_Ev18rocblas_operation_bbiiT1_lllT2_lll.num_agpr, 0
	.set _ZL19rocblas_tbsv_kernelILb0ELi512EPK19rocblas_complex_numIfEPS1_Ev18rocblas_operation_bbiiT1_lllT2_lll.numbered_sgpr, 68
	.set _ZL19rocblas_tbsv_kernelILb0ELi512EPK19rocblas_complex_numIfEPS1_Ev18rocblas_operation_bbiiT1_lllT2_lll.num_named_barrier, 0
	.set _ZL19rocblas_tbsv_kernelILb0ELi512EPK19rocblas_complex_numIfEPS1_Ev18rocblas_operation_bbiiT1_lllT2_lll.private_seg_size, 0
	.set _ZL19rocblas_tbsv_kernelILb0ELi512EPK19rocblas_complex_numIfEPS1_Ev18rocblas_operation_bbiiT1_lllT2_lll.uses_vcc, 1
	.set _ZL19rocblas_tbsv_kernelILb0ELi512EPK19rocblas_complex_numIfEPS1_Ev18rocblas_operation_bbiiT1_lllT2_lll.uses_flat_scratch, 0
	.set _ZL19rocblas_tbsv_kernelILb0ELi512EPK19rocblas_complex_numIfEPS1_Ev18rocblas_operation_bbiiT1_lllT2_lll.has_dyn_sized_stack, 0
	.set _ZL19rocblas_tbsv_kernelILb0ELi512EPK19rocblas_complex_numIfEPS1_Ev18rocblas_operation_bbiiT1_lllT2_lll.has_recursion, 0
	.set _ZL19rocblas_tbsv_kernelILb0ELi512EPK19rocblas_complex_numIfEPS1_Ev18rocblas_operation_bbiiT1_lllT2_lll.has_indirect_call, 0
	.section	.AMDGPU.csdata,"",@progbits
; Kernel info:
; codeLenInByte = 7544
; TotalNumSgprs: 74
; NumVgprs: 30
; NumAgprs: 0
; TotalNumVgprs: 30
; ScratchSize: 0
; MemoryBound: 0
; FloatMode: 240
; IeeeMode: 1
; LDSByteSize: 16384 bytes/workgroup (compile time only)
; SGPRBlocks: 9
; VGPRBlocks: 3
; NumSGPRsForWavesPerEU: 74
; NumVGPRsForWavesPerEU: 30
; AccumOffset: 32
; Occupancy: 8
; WaveLimiterHint : 0
; COMPUTE_PGM_RSRC2:SCRATCH_EN: 0
; COMPUTE_PGM_RSRC2:USER_SGPR: 2
; COMPUTE_PGM_RSRC2:TRAP_HANDLER: 0
; COMPUTE_PGM_RSRC2:TGID_X_EN: 1
; COMPUTE_PGM_RSRC2:TGID_Y_EN: 0
; COMPUTE_PGM_RSRC2:TGID_Z_EN: 0
; COMPUTE_PGM_RSRC2:TIDIG_COMP_CNT: 0
; COMPUTE_PGM_RSRC3_GFX90A:ACCUM_OFFSET: 7
; COMPUTE_PGM_RSRC3_GFX90A:TG_SPLIT: 0
	.section	.text._ZL19rocblas_tbsv_kernelILb1ELi512EPK19rocblas_complex_numIdEPS1_Ev18rocblas_operation_bbiiT1_lllT2_lll,"axG",@progbits,_ZL19rocblas_tbsv_kernelILb1ELi512EPK19rocblas_complex_numIdEPS1_Ev18rocblas_operation_bbiiT1_lllT2_lll,comdat
	.globl	_ZL19rocblas_tbsv_kernelILb1ELi512EPK19rocblas_complex_numIdEPS1_Ev18rocblas_operation_bbiiT1_lllT2_lll ; -- Begin function _ZL19rocblas_tbsv_kernelILb1ELi512EPK19rocblas_complex_numIdEPS1_Ev18rocblas_operation_bbiiT1_lllT2_lll
	.p2align	8
	.type	_ZL19rocblas_tbsv_kernelILb1ELi512EPK19rocblas_complex_numIdEPS1_Ev18rocblas_operation_bbiiT1_lllT2_lll,@function
_ZL19rocblas_tbsv_kernelILb1ELi512EPK19rocblas_complex_numIdEPS1_Ev18rocblas_operation_bbiiT1_lllT2_lll: ; @_ZL19rocblas_tbsv_kernelILb1ELi512EPK19rocblas_complex_numIdEPS1_Ev18rocblas_operation_bbiiT1_lllT2_lll
; %bb.0:
	s_load_dwordx2 s[38:39], s[0:1], 0x0
	s_load_dwordx4 s[20:23], s[0:1], 0x4
	s_load_dwordx16 s[4:19], s[0:1], 0x10
	s_waitcnt lgkmcnt(0)
	s_bitcmp1_b32 s39, 0
	s_cselect_b64 s[0:1], -1, 0
	s_xor_b64 s[36:37], s[0:1], -1
	s_bitcmp1_b32 s20, 8
	s_mul_i32 s0, s11, s2
	s_mul_hi_u32 s1, s10, s2
	s_cselect_b64 s[24:25], -1, 0
	s_add_i32 s27, s1, s0
	s_mul_i32 s26, s10, s2
	s_lshl_b64 s[28:29], s[26:27], 4
	s_add_u32 s0, s4, s28
	s_addc_u32 s1, s5, s29
	s_lshl_b64 s[30:31], s[6:7], 4
	s_add_u32 s34, s0, s30
	s_addc_u32 s35, s1, s31
	s_mul_i32 s0, s19, s2
	s_mul_hi_u32 s1, s18, s2
	s_add_i32 s1, s1, s0
	s_mul_i32 s0, s18, s2
	s_lshl_b64 s[0:1], s[0:1], 4
	s_add_u32 s2, s12, s0
	s_addc_u32 s3, s13, s1
	s_lshl_b64 s[0:1], s[14:15], 4
	s_add_u32 s10, s2, s0
	s_addc_u32 s11, s3, s1
	s_cmp_gt_i32 s21, 0
	s_cselect_b64 s[12:13], -1, 0
	s_cmpk_lg_i32 s38, 0x6f
	s_mov_b64 s[0:1], -1
	s_cbranch_scc0 .LBB6_107
; %bb.1:
	s_and_b64 vcc, exec, s[36:37]
	s_cbranch_vccz .LBB6_54
; %bb.2:
	s_andn2_b64 vcc, exec, s[12:13]
	s_cbranch_vccnz .LBB6_53
; %bb.3:
	s_add_i32 s46, s21, 0xfffffe00
	s_add_i32 s20, s21, -1
	s_add_u32 s2, s28, s30
	s_addc_u32 s3, s29, s31
	s_ashr_i32 s1, s21, 31
	s_mov_b32 s0, s21
	s_lshl_b64 s[0:1], s[0:1], 4
	s_add_u32 s0, s2, s0
	s_addc_u32 s1, s3, s1
	s_add_u32 s0, s4, s0
	s_addc_u32 s1, s5, s1
	v_mov_b32_e32 v1, 0x6000
	s_add_u32 s14, s0, 0xffffe020
	v_add_u32_e32 v2, s21, v0
	v_lshl_or_b32 v1, v0, 4, v1
	v_sub_u32_e32 v18, 0, v0
	s_addc_u32 s15, s1, -1
	v_add_u32_e32 v19, 0xfffffc00, v2
	s_lshl_b64 s[18:19], s[8:9], 4
	s_xor_b64 s[38:39], s[24:25], -1
	v_mov_b32_e32 v15, 0
	s_mov_b64 s[40:41], 0x2000
	s_mov_b32 s23, s21
	s_branch .LBB6_5
.LBB6_4:                                ;   in Loop: Header=BB6_5 Depth=1
	s_or_b64 exec, exec, s[42:43]
	s_addk_i32 s20, 0xfe00
	s_addk_i32 s23, 0xfe00
	s_add_u32 s14, s14, 0xffffe000
	s_addc_u32 s15, s15, -1
	v_add_u32_e32 v19, 0xfffffe00, v19
	s_andn2_b64 vcc, exec, s[2:3]
	s_mov_b32 s46, s33
	s_barrier
	s_cbranch_vccz .LBB6_53
.LBB6_5:                                ; =>This Loop Header: Depth=1
                                        ;     Child Loop BB6_10 Depth 2
                                        ;     Child Loop BB6_23 Depth 2
                                        ;       Child Loop BB6_26 Depth 3
	v_add_u32_e32 v20, s46, v0
	v_cmp_gt_i32_e32 vcc, 0, v20
	v_cmp_lt_i32_e64 s[0:1], -1, v20
	s_and_saveexec_b64 s[2:3], s[0:1]
	s_cbranch_execz .LBB6_7
; %bb.6:                                ;   in Loop: Header=BB6_5 Depth=1
	v_mad_u64_u32 v[2:3], s[42:43], s16, v20, 0
	v_mov_b32_e32 v4, v3
	v_mad_u64_u32 v[4:5], s[42:43], s17, v20, v[4:5]
	v_mov_b32_e32 v3, v4
	v_lshl_add_u64 v[2:3], v[2:3], 4, s[10:11]
	global_load_dwordx4 v[2:5], v[2:3], off
	s_waitcnt vmcnt(0)
	ds_write2_b64 v1, v[2:3], v[4:5] offset1:1
.LBB6_7:                                ;   in Loop: Header=BB6_5 Depth=1
	s_or_b64 exec, exec, s[2:3]
	v_ashrrev_i32_e32 v2, 31, v20
	v_mul_lo_u32 v4, s9, v20
	v_mul_lo_u32 v5, s8, v2
	v_mad_u64_u32 v[2:3], s[2:3], s8, v20, 0
	v_add3_u32 v3, v3, v5, v4
	v_add_u32_e32 v21, s22, v20
	v_lshl_add_u64 v[16:17], v[2:3], 4, s[34:35]
	s_movk_i32 s33, 0x1ff
	s_movk_i32 s47, 0x7ff0
	s_xor_b64 s[42:43], vcc, -1
	s_waitcnt lgkmcnt(0)
	s_barrier
	s_branch .LBB6_10
.LBB6_8:                                ;   in Loop: Header=BB6_10 Depth=2
	s_or_b64 exec, exec, s[2:3]
	s_add_i32 s33, s33, -1
	s_add_i32 s47, s47, -16
	s_cmp_eq_u32 s33, -1
	s_cselect_b64 s[2:3], -1, 0
.LBB6_9:                                ;   in Loop: Header=BB6_10 Depth=2
	s_and_b64 vcc, exec, s[2:3]
	s_cbranch_vccnz .LBB6_19
.LBB6_10:                               ;   Parent Loop BB6_5 Depth=1
                                        ; =>  This Inner Loop Header: Depth=2
	s_add_i32 s48, s20, s33
	s_addk_i32 s48, 0xfe01
	s_cmp_lt_i32 s48, 0
	s_mov_b64 s[2:3], -1
	s_cbranch_scc1 .LBB6_9
; %bb.11:                               ;   in Loop: Header=BB6_10 Depth=2
	v_add_u32_e32 v14, s33, v18
	v_cmp_eq_u32_e32 vcc, 0, v14
	s_and_b64 s[44:45], s[38:39], vcc
	s_and_saveexec_b64 s[2:3], s[44:45]
	s_cbranch_execz .LBB6_17
; %bb.12:                               ;   in Loop: Header=BB6_10 Depth=2
	s_mul_i32 s44, s9, s48
	s_mul_hi_u32 s45, s8, s48
	s_add_i32 s45, s45, s44
	s_mul_i32 s44, s8, s48
	s_lshl_b64 s[44:45], s[44:45], 4
	s_add_u32 s44, s34, s44
	s_addc_u32 s45, s35, s45
	global_load_dwordx4 v[6:9], v15, s[44:45]
	ds_read_b128 v[2:5], v1
	s_mov_b64 s[44:45], -1
                                        ; implicit-def: $vgpr10_vgpr11
	s_waitcnt vmcnt(0)
	v_cmp_ngt_f64_e64 s[50:51], |v[6:7]|, |v[8:9]|
	s_and_b64 vcc, exec, s[50:51]
	s_cbranch_vccz .LBB6_14
; %bb.13:                               ;   in Loop: Header=BB6_10 Depth=2
	v_div_scale_f64 v[10:11], s[44:45], -v[8:9], -v[8:9], v[6:7]
	v_rcp_f64_e32 v[12:13], v[10:11]
	v_div_scale_f64 v[22:23], vcc, v[6:7], -v[8:9], v[6:7]
	v_fma_f64 v[24:25], -v[10:11], v[12:13], 1.0
	v_fmac_f64_e32 v[12:13], v[12:13], v[24:25]
	v_fma_f64 v[24:25], -v[10:11], v[12:13], 1.0
	v_fmac_f64_e32 v[12:13], v[12:13], v[24:25]
	v_mul_f64 v[24:25], v[22:23], v[12:13]
	v_fma_f64 v[10:11], -v[10:11], v[24:25], v[22:23]
	v_div_fmas_f64 v[10:11], v[10:11], v[12:13], v[24:25]
	v_div_fixup_f64 v[12:13], v[10:11], -v[8:9], v[6:7]
	v_fma_f64 v[10:11], v[6:7], v[12:13], -v[8:9]
	v_div_scale_f64 v[22:23], s[44:45], v[10:11], v[10:11], 1.0
	v_rcp_f64_e32 v[24:25], v[22:23]
	s_mov_b64 s[44:45], 0
	v_fma_f64 v[26:27], -v[22:23], v[24:25], 1.0
	v_fmac_f64_e32 v[24:25], v[24:25], v[26:27]
	v_fma_f64 v[26:27], -v[22:23], v[24:25], 1.0
	v_fmac_f64_e32 v[24:25], v[24:25], v[26:27]
	v_div_scale_f64 v[26:27], vcc, 1.0, v[10:11], 1.0
	v_mul_f64 v[28:29], v[26:27], v[24:25]
	v_fma_f64 v[22:23], -v[22:23], v[28:29], v[26:27]
	s_nop 1
	v_div_fmas_f64 v[22:23], v[22:23], v[24:25], v[28:29]
	v_div_fixup_f64 v[22:23], v[22:23], v[10:11], 1.0
	s_waitcnt lgkmcnt(0)
	v_fma_f64 v[10:11], v[12:13], v[2:3], v[4:5]
	v_fma_f64 v[12:13], v[12:13], v[4:5], -v[2:3]
	v_mul_f64 v[10:11], v[10:11], v[22:23]
	v_mul_f64 v[12:13], v[22:23], v[12:13]
.LBB6_14:                               ;   in Loop: Header=BB6_10 Depth=2
	s_andn2_b64 vcc, exec, s[44:45]
	s_cbranch_vccnz .LBB6_16
; %bb.15:                               ;   in Loop: Header=BB6_10 Depth=2
	v_div_scale_f64 v[10:11], s[44:45], v[6:7], v[6:7], -v[8:9]
	v_rcp_f64_e32 v[12:13], v[10:11]
	v_div_scale_f64 v[22:23], vcc, -v[8:9], v[6:7], -v[8:9]
	v_fma_f64 v[24:25], -v[10:11], v[12:13], 1.0
	v_fmac_f64_e32 v[12:13], v[12:13], v[24:25]
	v_fma_f64 v[24:25], -v[10:11], v[12:13], 1.0
	v_fmac_f64_e32 v[12:13], v[12:13], v[24:25]
	v_mul_f64 v[24:25], v[22:23], v[12:13]
	v_fma_f64 v[10:11], -v[10:11], v[24:25], v[22:23]
	v_div_fmas_f64 v[10:11], v[10:11], v[12:13], v[24:25]
	v_div_fixup_f64 v[12:13], v[10:11], v[6:7], -v[8:9]
	v_fma_f64 v[6:7], -v[8:9], v[12:13], v[6:7]
	v_div_scale_f64 v[8:9], s[44:45], v[6:7], v[6:7], 1.0
	v_rcp_f64_e32 v[10:11], v[8:9]
	s_nop 0
	v_fma_f64 v[22:23], -v[8:9], v[10:11], 1.0
	v_fmac_f64_e32 v[10:11], v[10:11], v[22:23]
	v_fma_f64 v[22:23], -v[8:9], v[10:11], 1.0
	v_fmac_f64_e32 v[10:11], v[10:11], v[22:23]
	v_div_scale_f64 v[22:23], vcc, 1.0, v[6:7], 1.0
	v_mul_f64 v[24:25], v[22:23], v[10:11]
	v_fma_f64 v[8:9], -v[8:9], v[24:25], v[22:23]
	s_nop 1
	v_div_fmas_f64 v[8:9], v[8:9], v[10:11], v[24:25]
	v_div_fixup_f64 v[6:7], v[8:9], v[6:7], 1.0
	s_waitcnt lgkmcnt(0)
	v_fma_f64 v[8:9], v[12:13], v[4:5], v[2:3]
	v_fma_f64 v[2:3], -v[12:13], v[2:3], v[4:5]
	v_mul_f64 v[10:11], v[6:7], v[8:9]
	v_mul_f64 v[12:13], v[2:3], v[6:7]
.LBB6_16:                               ;   in Loop: Header=BB6_10 Depth=2
	ds_write_b128 v1, v[10:13]
.LBB6_17:                               ;   in Loop: Header=BB6_10 Depth=2
	s_or_b64 exec, exec, s[2:3]
	v_cmp_gt_u32_e32 vcc, s33, v0
	v_cmp_le_i32_e64 s[2:3], s48, v21
	s_and_b64 s[44:45], s[42:43], vcc
	s_and_b64 s[44:45], s[44:45], s[2:3]
	s_waitcnt lgkmcnt(0)
	s_barrier
	s_and_saveexec_b64 s[2:3], s[44:45]
	s_cbranch_execz .LBB6_8
; %bb.18:                               ;   in Loop: Header=BB6_10 Depth=2
	v_lshl_add_u64 v[2:3], v[14:15], 4, v[16:17]
	global_load_dwordx4 v[2:5], v[2:3], off
	v_mov_b32_e32 v6, s47
	ds_read_b128 v[6:9], v6
	ds_read_b128 v[10:13], v1
	s_waitcnt vmcnt(0) lgkmcnt(1)
	v_mul_f64 v[22:23], v[4:5], v[8:9]
	v_mul_f64 v[4:5], v[4:5], v[6:7]
	v_fmac_f64_e32 v[22:23], v[2:3], v[6:7]
	v_fma_f64 v[4:5], v[2:3], v[8:9], -v[4:5]
	s_waitcnt lgkmcnt(0)
	v_add_f64 v[2:3], v[10:11], -v[22:23]
	v_add_f64 v[4:5], v[12:13], -v[4:5]
	ds_write_b128 v1, v[2:5]
	s_branch .LBB6_8
.LBB6_19:                               ;   in Loop: Header=BB6_5 Depth=1
	s_add_i32 s33, s46, 0xfffffe00
	s_cmp_lt_i32 s46, 1
	s_cselect_b64 s[2:3], -1, 0
	s_and_b64 vcc, exec, s[2:3]
	s_waitcnt lgkmcnt(0)
	s_barrier
	s_cbranch_vccnz .LBB6_51
; %bb.20:                               ;   in Loop: Header=BB6_5 Depth=1
	v_mad_i64_i32 v[2:3], s[42:43], v19, -16, s[14:15]
	s_mov_b64 s[42:43], 0
	v_mov_b32_e32 v10, v19
	v_mov_b32_e32 v11, v0
	s_mov_b32 s52, s33
                                        ; implicit-def: $sgpr44_sgpr45
	s_branch .LBB6_23
.LBB6_21:                               ;   in Loop: Header=BB6_23 Depth=2
	v_mad_u64_u32 v[8:9], s[48:49], s16, v12, 0
	v_mov_b32_e32 v14, v9
	v_mad_u64_u32 v[12:13], s[48:49], s17, v12, v[14:15]
	v_mov_b32_e32 v9, v12
	v_lshl_add_u64 v[12:13], v[8:9], 4, s[10:11]
	global_load_dwordx4 v[22:25], v[12:13], off
	s_add_i32 s50, s52, 0xfffffe00
	s_cmp_lt_i32 s52, 1
	s_cselect_b64 s[48:49], -1, 0
	s_andn2_b64 s[44:45], s[44:45], exec
	s_and_b64 s[48:49], s[48:49], exec
	v_lshl_add_u64 v[2:3], v[2:3], 0, s[40:41]
	v_add_u32_e32 v10, 0xfffffe00, v10
	s_or_b64 s[44:45], s[44:45], s[48:49]
	s_mov_b32 s52, s50
	s_waitcnt vmcnt(0)
	v_add_f64 v[6:7], v[22:23], -v[6:7]
	v_add_f64 v[8:9], v[24:25], -v[4:5]
	global_store_dwordx4 v[12:13], v[6:9], off
.LBB6_22:                               ;   in Loop: Header=BB6_23 Depth=2
	s_or_b64 exec, exec, s[46:47]
	s_and_b64 s[46:47], exec, s[44:45]
	s_or_b64 s[42:43], s[46:47], s[42:43]
	s_andn2_b64 exec, exec, s[42:43]
	s_cbranch_execz .LBB6_50
.LBB6_23:                               ;   Parent Loop BB6_5 Depth=1
                                        ; =>  This Loop Header: Depth=2
                                        ;       Child Loop BB6_26 Depth 3
	v_add_u32_e32 v12, s52, v0
	v_cmp_lt_i32_e32 vcc, -1, v12
	s_or_b64 s[44:45], s[44:45], exec
	s_and_saveexec_b64 s[46:47], vcc
	s_cbranch_execz .LBB6_22
; %bb.24:                               ;   in Loop: Header=BB6_23 Depth=2
	v_mad_u64_u32 v[8:9], s[48:49], s18, v10, v[2:3]
	v_mov_b32_e32 v4, v9
	v_mad_u64_u32 v[4:5], s[48:49], s19, v10, v[4:5]
	v_mov_b32_e32 v9, v4
	v_add_u32_e32 v13, s22, v12
	v_add_u32_e32 v14, 0xfffffdfd, v11
	;; [unrolled: 1-line block ×5, first 2 shown]
	v_mov_b64_e32 v[4:5], 0
	s_mov_b32 s53, 0
	s_movk_i32 s54, 0x6000
	v_mov_b64_e32 v[6:7], 0
	s_branch .LBB6_26
.LBB6_25:                               ;   in Loop: Header=BB6_26 Depth=3
	s_or_b64 exec, exec, s[48:49]
	s_add_i32 s53, s53, 4
	s_add_i32 s54, s54, 64
	s_cmpk_eq_i32 s53, 0x200
	v_lshl_add_u64 v[8:9], v[8:9], 0, 64
	s_cbranch_scc1 .LBB6_21
.LBB6_26:                               ;   Parent Loop BB6_5 Depth=1
                                        ;     Parent Loop BB6_23 Depth=2
                                        ; =>    This Inner Loop Header: Depth=3
	v_cmp_ne_u32_e32 vcc, s53, v11
	s_add_i32 s55, s23, s53
	s_or_b64 s[48:49], s[38:39], vcc
	s_and_saveexec_b64 s[50:51], s[48:49]
	s_xor_b64 s[48:49], exec, s[50:51]
	s_cbranch_execz .LBB6_30
; %bb.27:                               ;   in Loop: Header=BB6_26 Depth=3
	s_add_i32 s50, s55, 0xfffffe00
	v_cmp_le_i32_e32 vcc, s50, v13
	s_and_saveexec_b64 s[50:51], vcc
	s_cbranch_execz .LBB6_29
; %bb.28:                               ;   in Loop: Header=BB6_26 Depth=3
	global_load_dwordx4 v[22:25], v[8:9], off offset:-32
	v_mov_b32_e32 v21, s54
	ds_read_b128 v[26:29], v21
	s_waitcnt vmcnt(0) lgkmcnt(0)
	v_mul_f64 v[30:31], v[24:25], v[28:29]
	v_mul_f64 v[24:25], v[24:25], v[26:27]
	v_fmac_f64_e32 v[30:31], v[22:23], v[26:27]
	v_fma_f64 v[22:23], v[22:23], v[28:29], -v[24:25]
	v_add_f64 v[6:7], v[6:7], v[30:31]
	v_add_f64 v[4:5], v[4:5], v[22:23]
.LBB6_29:                               ;   in Loop: Header=BB6_26 Depth=3
	s_or_b64 exec, exec, s[50:51]
.LBB6_30:                               ;   in Loop: Header=BB6_26 Depth=3
	s_andn2_saveexec_b64 s[48:49], s[48:49]
	s_cbranch_execz .LBB6_32
; %bb.31:                               ;   in Loop: Header=BB6_26 Depth=3
	v_mov_b32_e32 v21, s54
	ds_read_b128 v[22:25], v21
	s_waitcnt lgkmcnt(0)
	v_add_f64 v[6:7], v[6:7], v[22:23]
	v_add_f64 v[4:5], v[4:5], v[24:25]
.LBB6_32:                               ;   in Loop: Header=BB6_26 Depth=3
	s_or_b64 exec, exec, s[48:49]
	v_cmp_ne_u32_e32 vcc, s53, v17
	s_or_b64 s[48:49], s[38:39], vcc
	s_and_saveexec_b64 s[50:51], s[48:49]
	s_xor_b64 s[48:49], exec, s[50:51]
	s_cbranch_execz .LBB6_36
; %bb.33:                               ;   in Loop: Header=BB6_26 Depth=3
	s_add_i32 s50, s55, 0xfffffe01
	v_cmp_le_i32_e32 vcc, s50, v13
	s_and_saveexec_b64 s[50:51], vcc
	s_cbranch_execz .LBB6_35
; %bb.34:                               ;   in Loop: Header=BB6_26 Depth=3
	global_load_dwordx4 v[22:25], v[8:9], off offset:-16
	v_mov_b32_e32 v21, s54
	ds_read_b128 v[26:29], v21 offset:16
	s_waitcnt vmcnt(0) lgkmcnt(0)
	v_mul_f64 v[30:31], v[24:25], v[28:29]
	v_mul_f64 v[24:25], v[24:25], v[26:27]
	v_fmac_f64_e32 v[30:31], v[22:23], v[26:27]
	v_fma_f64 v[22:23], v[22:23], v[28:29], -v[24:25]
	v_add_f64 v[6:7], v[6:7], v[30:31]
	v_add_f64 v[4:5], v[4:5], v[22:23]
.LBB6_35:                               ;   in Loop: Header=BB6_26 Depth=3
	s_or_b64 exec, exec, s[50:51]
.LBB6_36:                               ;   in Loop: Header=BB6_26 Depth=3
	s_andn2_saveexec_b64 s[48:49], s[48:49]
	s_cbranch_execz .LBB6_38
; %bb.37:                               ;   in Loop: Header=BB6_26 Depth=3
	v_mov_b32_e32 v21, s54
	ds_read_b128 v[22:25], v21 offset:16
	s_waitcnt lgkmcnt(0)
	v_add_f64 v[6:7], v[6:7], v[22:23]
	v_add_f64 v[4:5], v[4:5], v[24:25]
.LBB6_38:                               ;   in Loop: Header=BB6_26 Depth=3
	s_or_b64 exec, exec, s[48:49]
	v_cmp_ne_u32_e32 vcc, s53, v16
	s_or_b64 s[48:49], s[38:39], vcc
	s_and_saveexec_b64 s[50:51], s[48:49]
	s_xor_b64 s[48:49], exec, s[50:51]
	s_cbranch_execz .LBB6_42
; %bb.39:                               ;   in Loop: Header=BB6_26 Depth=3
	s_add_i32 s50, s55, 0xfffffe02
	v_cmp_le_i32_e32 vcc, s50, v13
	s_and_saveexec_b64 s[50:51], vcc
	s_cbranch_execz .LBB6_41
; %bb.40:                               ;   in Loop: Header=BB6_26 Depth=3
	global_load_dwordx4 v[22:25], v[8:9], off
	v_mov_b32_e32 v21, s54
	ds_read_b128 v[26:29], v21 offset:32
	s_waitcnt vmcnt(0) lgkmcnt(0)
	v_mul_f64 v[30:31], v[24:25], v[28:29]
	v_mul_f64 v[24:25], v[24:25], v[26:27]
	v_fmac_f64_e32 v[30:31], v[22:23], v[26:27]
	v_fma_f64 v[22:23], v[22:23], v[28:29], -v[24:25]
	v_add_f64 v[6:7], v[6:7], v[30:31]
	v_add_f64 v[4:5], v[4:5], v[22:23]
.LBB6_41:                               ;   in Loop: Header=BB6_26 Depth=3
	s_or_b64 exec, exec, s[50:51]
.LBB6_42:                               ;   in Loop: Header=BB6_26 Depth=3
	s_andn2_saveexec_b64 s[48:49], s[48:49]
	s_cbranch_execz .LBB6_44
; %bb.43:                               ;   in Loop: Header=BB6_26 Depth=3
	v_mov_b32_e32 v21, s54
	ds_read_b128 v[22:25], v21 offset:32
	s_waitcnt lgkmcnt(0)
	v_add_f64 v[6:7], v[6:7], v[22:23]
	v_add_f64 v[4:5], v[4:5], v[24:25]
.LBB6_44:                               ;   in Loop: Header=BB6_26 Depth=3
	s_or_b64 exec, exec, s[48:49]
	v_cmp_ne_u32_e32 vcc, s53, v14
	s_or_b64 s[48:49], s[38:39], vcc
	s_and_saveexec_b64 s[50:51], s[48:49]
	s_xor_b64 s[48:49], exec, s[50:51]
	s_cbranch_execz .LBB6_48
; %bb.45:                               ;   in Loop: Header=BB6_26 Depth=3
	s_addk_i32 s55, 0xfe03
	v_cmp_le_i32_e32 vcc, s55, v13
	s_and_saveexec_b64 s[50:51], vcc
	s_cbranch_execz .LBB6_47
; %bb.46:                               ;   in Loop: Header=BB6_26 Depth=3
	global_load_dwordx4 v[22:25], v[8:9], off offset:16
	v_mov_b32_e32 v21, s54
	ds_read_b128 v[26:29], v21 offset:48
	s_waitcnt vmcnt(0) lgkmcnt(0)
	v_mul_f64 v[30:31], v[24:25], v[28:29]
	v_mul_f64 v[24:25], v[24:25], v[26:27]
	v_fmac_f64_e32 v[30:31], v[22:23], v[26:27]
	v_fma_f64 v[22:23], v[22:23], v[28:29], -v[24:25]
	v_add_f64 v[6:7], v[6:7], v[30:31]
	v_add_f64 v[4:5], v[4:5], v[22:23]
.LBB6_47:                               ;   in Loop: Header=BB6_26 Depth=3
	s_or_b64 exec, exec, s[50:51]
.LBB6_48:                               ;   in Loop: Header=BB6_26 Depth=3
	s_andn2_saveexec_b64 s[48:49], s[48:49]
	s_cbranch_execz .LBB6_25
; %bb.49:                               ;   in Loop: Header=BB6_26 Depth=3
	v_mov_b32_e32 v21, s54
	ds_read_b128 v[22:25], v21 offset:48
	s_waitcnt lgkmcnt(0)
	v_add_f64 v[6:7], v[6:7], v[22:23]
	v_add_f64 v[4:5], v[4:5], v[24:25]
	s_branch .LBB6_25
.LBB6_50:                               ;   in Loop: Header=BB6_5 Depth=1
	s_or_b64 exec, exec, s[42:43]
.LBB6_51:                               ;   in Loop: Header=BB6_5 Depth=1
	s_and_saveexec_b64 s[42:43], s[0:1]
	s_cbranch_execz .LBB6_4
; %bb.52:                               ;   in Loop: Header=BB6_5 Depth=1
	v_mad_u64_u32 v[6:7], s[0:1], s16, v20, 0
	ds_read2_b64 v[2:5], v1 offset1:1
	v_mov_b32_e32 v8, v7
	v_mad_u64_u32 v[8:9], s[0:1], s17, v20, v[8:9]
	v_mov_b32_e32 v7, v8
	v_lshl_add_u64 v[6:7], v[6:7], 4, s[10:11]
	s_waitcnt lgkmcnt(0)
	global_store_dwordx4 v[6:7], v[2:5], off
	s_branch .LBB6_4
.LBB6_53:
	s_mov_b64 s[0:1], 0
.LBB6_54:
	s_andn2_b64 vcc, exec, s[0:1]
	s_cbranch_vccnz .LBB6_106
; %bb.55:
	s_andn2_b64 vcc, exec, s[12:13]
	s_cbranch_vccnz .LBB6_106
; %bb.56:
	s_ashr_i32 s23, s22, 31
	s_lshl_b64 s[14:15], s[8:9], 4
	s_add_u32 s18, s14, -16
	s_addc_u32 s20, s15, -1
	s_lshl_b64 s[0:1], s[22:23], 4
	s_add_u32 s2, s4, s0
	s_addc_u32 s3, s5, s1
	s_add_u32 s2, s2, s30
	s_addc_u32 s3, s3, s31
	;; [unrolled: 2-line block ×3, first 2 shown]
	v_mov_b64_e32 v[2:3], s[2:3]
	v_mad_u64_u32 v[2:3], s[18:19], s18, v0, v[2:3]
	v_mov_b32_e32 v4, v3
	v_mad_u64_u32 v[4:5], s[18:19], s20, v0, v[4:5]
	s_lshl_b64 s[18:19], s[8:9], 13
	s_add_u32 s20, s28, s30
	s_addc_u32 s23, s29, s31
	s_add_u32 s0, s20, s0
	s_addc_u32 s1, s23, s1
	;; [unrolled: 2-line block ×3, first 2 shown]
	v_mov_b32_e32 v3, v4
	s_add_u32 s38, s0, 8
	v_or_b32_e32 v22, 0x200, v0
	v_lshl_add_u64 v[14:15], v[2:3], 0, 8
	s_addc_u32 s39, s1, 0
	v_mad_u64_u32 v[2:3], s[0:1], s8, v22, 0
	v_mov_b32_e32 v4, v3
	v_mad_u64_u32 v[4:5], s[0:1], s9, v22, v[4:5]
	s_add_u32 s40, s18, 0x2000
	v_mov_b32_e32 v3, v4
	s_addc_u32 s41, s19, 0
	v_mov_b32_e32 v1, 0x2000
	v_lshl_add_u64 v[2:3], v[2:3], 4, s[2:3]
	s_add_u32 s42, s18, 0xffffe000
	v_lshl_or_b32 v1, v0, 4, v1
	v_lshl_add_u64 v[16:17], v[2:3], 0, 32
	s_addc_u32 s43, s19, -1
	s_mov_b32 s20, 0
	s_xor_b64 s[44:45], s[24:25], -1
	s_branch .LBB6_58
.LBB6_57:                               ;   in Loop: Header=BB6_58 Depth=1
	s_or_b64 exec, exec, s[46:47]
	s_add_u32 s38, s38, s18
	v_lshl_add_u64 v[14:15], v[14:15], 0, s[18:19]
	s_addc_u32 s39, s39, s19
	v_lshl_add_u64 v[16:17], v[16:17], 0, s[40:41]
	v_add_u32_e32 v22, 0x200, v22
	s_and_b64 vcc, exec, s[2:3]
	s_mov_b32 s20, s23
	s_barrier
	s_cbranch_vccnz .LBB6_106
.LBB6_58:                               ; =>This Loop Header: Depth=1
                                        ;     Child Loop BB6_63 Depth 2
                                        ;     Child Loop BB6_76 Depth 2
                                        ;       Child Loop BB6_79 Depth 3
	v_add_u32_e32 v23, s20, v0
	v_cmp_le_i32_e32 vcc, s21, v23
	v_cmp_gt_i32_e64 s[0:1], s21, v23
	s_and_saveexec_b64 s[2:3], s[0:1]
	s_cbranch_execz .LBB6_60
; %bb.59:                               ;   in Loop: Header=BB6_58 Depth=1
	v_mad_u64_u32 v[2:3], s[46:47], s16, v23, 0
	v_mov_b32_e32 v4, v3
	v_mad_u64_u32 v[4:5], s[46:47], s17, v23, v[4:5]
	v_mov_b32_e32 v3, v4
	v_lshl_add_u64 v[2:3], v[2:3], 4, s[10:11]
	global_load_dwordx4 v[2:5], v[2:3], off
	s_waitcnt vmcnt(0)
	ds_write2_b64 v1, v[2:3], v[4:5] offset1:1
.LBB6_60:                               ;   in Loop: Header=BB6_58 Depth=1
	s_or_b64 exec, exec, s[2:3]
	v_subrev_u32_e32 v24, s22, v23
	s_mov_b32 s23, 0
	s_movk_i32 s33, 0x2000
	v_mov_b64_e32 v[18:19], s[38:39]
	s_xor_b64 s[46:47], vcc, -1
	v_mov_b64_e32 v[20:21], v[14:15]
	s_waitcnt lgkmcnt(0)
	s_barrier
	s_branch .LBB6_63
.LBB6_61:                               ;   in Loop: Header=BB6_63 Depth=2
	s_or_b64 exec, exec, s[2:3]
	s_add_i32 s23, s23, 1
	s_add_i32 s33, s33, 16
	s_cmpk_eq_i32 s23, 0x200
	v_lshl_add_u64 v[20:21], v[20:21], 0, 16
	v_lshl_add_u64 v[18:19], v[18:19], 0, s[14:15]
	s_cselect_b64 s[2:3], -1, 0
.LBB6_62:                               ;   in Loop: Header=BB6_63 Depth=2
	s_and_b64 vcc, exec, s[2:3]
	s_cbranch_vccnz .LBB6_72
.LBB6_63:                               ;   Parent Loop BB6_58 Depth=1
                                        ; =>  This Inner Loop Header: Depth=2
	s_add_i32 s50, s20, s23
	s_cmp_ge_i32 s50, s21
	s_mov_b64 s[2:3], -1
	s_cbranch_scc1 .LBB6_62
; %bb.64:                               ;   in Loop: Header=BB6_63 Depth=2
	v_cmp_eq_u32_e32 vcc, s23, v0
	s_and_b64 s[48:49], s[44:45], vcc
	s_and_saveexec_b64 s[2:3], s[48:49]
	s_cbranch_execz .LBB6_70
; %bb.65:                               ;   in Loop: Header=BB6_63 Depth=2
	global_load_dwordx4 v[6:9], v[18:19], off offset:-8
	ds_read_b128 v[2:5], v1
	s_mov_b64 s[48:49], -1
                                        ; implicit-def: $vgpr10_vgpr11
	s_waitcnt vmcnt(0)
	v_cmp_ngt_f64_e64 s[52:53], |v[6:7]|, |v[8:9]|
	s_and_b64 vcc, exec, s[52:53]
	s_cbranch_vccz .LBB6_67
; %bb.66:                               ;   in Loop: Header=BB6_63 Depth=2
	v_div_scale_f64 v[10:11], s[48:49], -v[8:9], -v[8:9], v[6:7]
	v_rcp_f64_e32 v[12:13], v[10:11]
	v_div_scale_f64 v[26:27], vcc, v[6:7], -v[8:9], v[6:7]
	v_fma_f64 v[28:29], -v[10:11], v[12:13], 1.0
	v_fmac_f64_e32 v[12:13], v[12:13], v[28:29]
	v_fma_f64 v[28:29], -v[10:11], v[12:13], 1.0
	v_fmac_f64_e32 v[12:13], v[12:13], v[28:29]
	v_mul_f64 v[28:29], v[26:27], v[12:13]
	v_fma_f64 v[10:11], -v[10:11], v[28:29], v[26:27]
	v_div_fmas_f64 v[10:11], v[10:11], v[12:13], v[28:29]
	v_div_fixup_f64 v[12:13], v[10:11], -v[8:9], v[6:7]
	v_fma_f64 v[10:11], v[6:7], v[12:13], -v[8:9]
	v_div_scale_f64 v[26:27], s[48:49], v[10:11], v[10:11], 1.0
	v_rcp_f64_e32 v[28:29], v[26:27]
	s_mov_b64 s[48:49], 0
	v_fma_f64 v[30:31], -v[26:27], v[28:29], 1.0
	v_fmac_f64_e32 v[28:29], v[28:29], v[30:31]
	v_fma_f64 v[30:31], -v[26:27], v[28:29], 1.0
	v_fmac_f64_e32 v[28:29], v[28:29], v[30:31]
	v_div_scale_f64 v[30:31], vcc, 1.0, v[10:11], 1.0
	v_mul_f64 v[32:33], v[30:31], v[28:29]
	v_fma_f64 v[26:27], -v[26:27], v[32:33], v[30:31]
	s_nop 1
	v_div_fmas_f64 v[26:27], v[26:27], v[28:29], v[32:33]
	v_div_fixup_f64 v[26:27], v[26:27], v[10:11], 1.0
	s_waitcnt lgkmcnt(0)
	v_fma_f64 v[10:11], v[12:13], v[2:3], v[4:5]
	v_fma_f64 v[12:13], v[12:13], v[4:5], -v[2:3]
	v_mul_f64 v[10:11], v[10:11], v[26:27]
	v_mul_f64 v[12:13], v[26:27], v[12:13]
.LBB6_67:                               ;   in Loop: Header=BB6_63 Depth=2
	s_andn2_b64 vcc, exec, s[48:49]
	s_cbranch_vccnz .LBB6_69
; %bb.68:                               ;   in Loop: Header=BB6_63 Depth=2
	v_div_scale_f64 v[10:11], s[48:49], v[6:7], v[6:7], -v[8:9]
	v_rcp_f64_e32 v[12:13], v[10:11]
	v_div_scale_f64 v[26:27], vcc, -v[8:9], v[6:7], -v[8:9]
	v_fma_f64 v[28:29], -v[10:11], v[12:13], 1.0
	v_fmac_f64_e32 v[12:13], v[12:13], v[28:29]
	v_fma_f64 v[28:29], -v[10:11], v[12:13], 1.0
	v_fmac_f64_e32 v[12:13], v[12:13], v[28:29]
	v_mul_f64 v[28:29], v[26:27], v[12:13]
	v_fma_f64 v[10:11], -v[10:11], v[28:29], v[26:27]
	v_div_fmas_f64 v[10:11], v[10:11], v[12:13], v[28:29]
	v_div_fixup_f64 v[12:13], v[10:11], v[6:7], -v[8:9]
	v_fma_f64 v[6:7], -v[8:9], v[12:13], v[6:7]
	v_div_scale_f64 v[8:9], s[48:49], v[6:7], v[6:7], 1.0
	v_rcp_f64_e32 v[10:11], v[8:9]
	s_nop 0
	v_fma_f64 v[26:27], -v[8:9], v[10:11], 1.0
	v_fmac_f64_e32 v[10:11], v[10:11], v[26:27]
	v_fma_f64 v[26:27], -v[8:9], v[10:11], 1.0
	v_fmac_f64_e32 v[10:11], v[10:11], v[26:27]
	v_div_scale_f64 v[26:27], vcc, 1.0, v[6:7], 1.0
	v_mul_f64 v[28:29], v[26:27], v[10:11]
	v_fma_f64 v[8:9], -v[8:9], v[28:29], v[26:27]
	s_nop 1
	v_div_fmas_f64 v[8:9], v[8:9], v[10:11], v[28:29]
	v_div_fixup_f64 v[6:7], v[8:9], v[6:7], 1.0
	s_waitcnt lgkmcnt(0)
	v_fma_f64 v[8:9], v[12:13], v[4:5], v[2:3]
	v_fma_f64 v[2:3], -v[12:13], v[2:3], v[4:5]
	v_mul_f64 v[10:11], v[6:7], v[8:9]
	v_mul_f64 v[12:13], v[2:3], v[6:7]
.LBB6_69:                               ;   in Loop: Header=BB6_63 Depth=2
	ds_write_b128 v1, v[10:13]
.LBB6_70:                               ;   in Loop: Header=BB6_63 Depth=2
	s_or_b64 exec, exec, s[2:3]
	v_cmp_lt_u32_e32 vcc, s23, v0
	v_cmp_ge_i32_e64 s[2:3], s50, v24
	s_and_b64 s[48:49], s[46:47], vcc
	s_and_b64 s[48:49], s[48:49], s[2:3]
	s_waitcnt lgkmcnt(0)
	s_barrier
	s_and_saveexec_b64 s[2:3], s[48:49]
	s_cbranch_execz .LBB6_61
; %bb.71:                               ;   in Loop: Header=BB6_63 Depth=2
	global_load_dwordx4 v[2:5], v[20:21], off offset:-8
	v_mov_b32_e32 v6, s33
	ds_read_b128 v[6:9], v6
	ds_read_b128 v[10:13], v1
	s_waitcnt vmcnt(0) lgkmcnt(1)
	v_mul_f64 v[26:27], v[4:5], v[8:9]
	v_mul_f64 v[4:5], v[4:5], v[6:7]
	v_fmac_f64_e32 v[26:27], v[2:3], v[6:7]
	v_fma_f64 v[4:5], v[2:3], v[8:9], -v[4:5]
	s_waitcnt lgkmcnt(0)
	v_add_f64 v[2:3], v[10:11], -v[26:27]
	v_add_f64 v[4:5], v[12:13], -v[4:5]
	ds_write_b128 v1, v[2:5]
	s_branch .LBB6_61
.LBB6_72:                               ;   in Loop: Header=BB6_58 Depth=1
	s_add_i32 s23, s20, 0x200
	s_cmp_ge_i32 s23, s21
	s_cselect_b64 s[2:3], -1, 0
	s_and_b64 vcc, exec, s[2:3]
	s_waitcnt lgkmcnt(0)
	s_barrier
	s_cbranch_vccnz .LBB6_104
; %bb.73:                               ;   in Loop: Header=BB6_58 Depth=1
	v_mad_i64_i32 v[2:3], s[46:47], v22, -16, v[16:17]
	s_mov_b64 s[46:47], 0
	v_mov_b32_e32 v10, v0
	s_mov_b32 s33, s23
                                        ; implicit-def: $sgpr48_sgpr49
	s_branch .LBB6_76
.LBB6_74:                               ;   in Loop: Header=BB6_76 Depth=2
	v_mad_u64_u32 v[8:9], s[52:53], s16, v11, 0
	v_mov_b32_e32 v12, v9
	v_mad_u64_u32 v[12:13], s[52:53], s17, v11, v[12:13]
	v_mov_b32_e32 v9, v12
	v_lshl_add_u64 v[12:13], v[8:9], 4, s[10:11]
	global_load_dwordx4 v[18:21], v[12:13], off
	s_addk_i32 s33, 0x200
	s_cmp_ge_i32 s33, s21
	s_cselect_b64 s[52:53], -1, 0
	s_andn2_b64 s[48:49], s[48:49], exec
	s_and_b64 s[52:53], s[52:53], exec
	v_lshl_add_u64 v[2:3], v[2:3], 0, s[42:43]
	s_or_b64 s[48:49], s[48:49], s[52:53]
	s_waitcnt vmcnt(0)
	v_add_f64 v[6:7], v[18:19], -v[6:7]
	v_add_f64 v[8:9], v[20:21], -v[4:5]
	global_store_dwordx4 v[12:13], v[6:9], off
.LBB6_75:                               ;   in Loop: Header=BB6_76 Depth=2
	s_or_b64 exec, exec, s[50:51]
	s_and_b64 s[50:51], exec, s[48:49]
	s_or_b64 s[46:47], s[50:51], s[46:47]
	s_andn2_b64 exec, exec, s[46:47]
	s_cbranch_execz .LBB6_103
.LBB6_76:                               ;   Parent Loop BB6_58 Depth=1
                                        ; =>  This Loop Header: Depth=2
                                        ;       Child Loop BB6_79 Depth 3
	v_add_u32_e32 v11, s33, v0
	v_cmp_gt_i32_e32 vcc, s21, v11
	s_or_b64 s[48:49], s[48:49], exec
	s_and_saveexec_b64 s[50:51], vcc
	s_cbranch_execz .LBB6_75
; %bb.77:                               ;   in Loop: Header=BB6_76 Depth=2
	v_subrev_u32_e32 v12, s22, v11
	v_add_u32_e32 v13, 0x1fd, v10
	v_add_u32_e32 v18, 0x1fe, v10
	;; [unrolled: 1-line block ×4, first 2 shown]
	v_mov_b64_e32 v[4:5], 0
	s_mov_b32 s56, 0
	s_movk_i32 s57, 0x2000
	v_mov_b64_e32 v[8:9], v[2:3]
	v_mov_b64_e32 v[6:7], 0
	s_branch .LBB6_79
.LBB6_78:                               ;   in Loop: Header=BB6_79 Depth=3
	s_or_b64 exec, exec, s[52:53]
	s_add_i32 s56, s56, 4
	s_add_i32 s57, s57, 64
	s_cmpk_eq_i32 s56, 0x200
	v_lshl_add_u64 v[8:9], v[8:9], 0, 64
	s_cbranch_scc1 .LBB6_74
.LBB6_79:                               ;   Parent Loop BB6_58 Depth=1
                                        ;     Parent Loop BB6_76 Depth=2
                                        ; =>    This Inner Loop Header: Depth=3
	v_cmp_ne_u32_e32 vcc, s56, v10
	s_add_i32 s58, s20, s56
	s_or_b64 s[52:53], s[44:45], vcc
	s_and_saveexec_b64 s[54:55], s[52:53]
	s_xor_b64 s[52:53], exec, s[54:55]
	s_cbranch_execz .LBB6_83
; %bb.80:                               ;   in Loop: Header=BB6_79 Depth=3
	s_cmp_lt_i32 s58, s21
	s_cselect_b64 s[54:55], -1, 0
	v_cmp_ge_i32_e32 vcc, s58, v12
	s_and_b64 s[60:61], s[54:55], vcc
	s_and_saveexec_b64 s[54:55], s[60:61]
	s_cbranch_execz .LBB6_82
; %bb.81:                               ;   in Loop: Header=BB6_79 Depth=3
	global_load_dwordx4 v[24:27], v[8:9], off offset:-32
	v_mov_b32_e32 v20, s57
	ds_read_b128 v[28:31], v20
	s_waitcnt vmcnt(0) lgkmcnt(0)
	v_mul_f64 v[20:21], v[26:27], v[30:31]
	v_mul_f64 v[26:27], v[26:27], v[28:29]
	v_fmac_f64_e32 v[20:21], v[24:25], v[28:29]
	v_fma_f64 v[24:25], v[24:25], v[30:31], -v[26:27]
	v_add_f64 v[6:7], v[6:7], v[20:21]
	v_add_f64 v[4:5], v[4:5], v[24:25]
.LBB6_82:                               ;   in Loop: Header=BB6_79 Depth=3
	s_or_b64 exec, exec, s[54:55]
.LBB6_83:                               ;   in Loop: Header=BB6_79 Depth=3
	s_andn2_saveexec_b64 s[52:53], s[52:53]
	s_cbranch_execz .LBB6_85
; %bb.84:                               ;   in Loop: Header=BB6_79 Depth=3
	v_mov_b32_e32 v20, s57
	ds_read_b128 v[24:27], v20
	s_waitcnt lgkmcnt(0)
	v_add_f64 v[6:7], v[6:7], v[24:25]
	v_add_f64 v[4:5], v[4:5], v[26:27]
.LBB6_85:                               ;   in Loop: Header=BB6_79 Depth=3
	s_or_b64 exec, exec, s[52:53]
	v_cmp_ne_u32_e32 vcc, s56, v19
	s_or_b64 s[52:53], s[44:45], vcc
	s_and_saveexec_b64 s[54:55], s[52:53]
	s_xor_b64 s[52:53], exec, s[54:55]
	s_cbranch_execz .LBB6_89
; %bb.86:                               ;   in Loop: Header=BB6_79 Depth=3
	s_add_i32 s59, s58, 1
	s_cmp_lt_i32 s59, s21
	s_cselect_b64 s[54:55], -1, 0
	v_cmp_ge_i32_e32 vcc, s59, v12
	s_and_b64 s[60:61], s[54:55], vcc
	s_and_saveexec_b64 s[54:55], s[60:61]
	s_cbranch_execz .LBB6_88
; %bb.87:                               ;   in Loop: Header=BB6_79 Depth=3
	global_load_dwordx4 v[24:27], v[8:9], off offset:-16
	v_mov_b32_e32 v20, s57
	ds_read_b128 v[28:31], v20 offset:16
	s_waitcnt vmcnt(0) lgkmcnt(0)
	v_mul_f64 v[20:21], v[26:27], v[30:31]
	v_mul_f64 v[26:27], v[26:27], v[28:29]
	v_fmac_f64_e32 v[20:21], v[24:25], v[28:29]
	v_fma_f64 v[24:25], v[24:25], v[30:31], -v[26:27]
	v_add_f64 v[6:7], v[6:7], v[20:21]
	v_add_f64 v[4:5], v[4:5], v[24:25]
.LBB6_88:                               ;   in Loop: Header=BB6_79 Depth=3
	s_or_b64 exec, exec, s[54:55]
.LBB6_89:                               ;   in Loop: Header=BB6_79 Depth=3
	s_andn2_saveexec_b64 s[52:53], s[52:53]
	s_cbranch_execz .LBB6_91
; %bb.90:                               ;   in Loop: Header=BB6_79 Depth=3
	v_mov_b32_e32 v20, s57
	ds_read_b128 v[24:27], v20 offset:16
	s_waitcnt lgkmcnt(0)
	v_add_f64 v[6:7], v[6:7], v[24:25]
	v_add_f64 v[4:5], v[4:5], v[26:27]
.LBB6_91:                               ;   in Loop: Header=BB6_79 Depth=3
	s_or_b64 exec, exec, s[52:53]
	v_cmp_ne_u32_e32 vcc, s56, v18
	s_or_b64 s[52:53], s[44:45], vcc
	s_and_saveexec_b64 s[54:55], s[52:53]
	s_xor_b64 s[52:53], exec, s[54:55]
	s_cbranch_execz .LBB6_95
; %bb.92:                               ;   in Loop: Header=BB6_79 Depth=3
	s_add_i32 s59, s58, 2
	s_cmp_lt_i32 s59, s21
	s_cselect_b64 s[54:55], -1, 0
	v_cmp_ge_i32_e32 vcc, s59, v12
	s_and_b64 s[60:61], s[54:55], vcc
	s_and_saveexec_b64 s[54:55], s[60:61]
	s_cbranch_execz .LBB6_94
; %bb.93:                               ;   in Loop: Header=BB6_79 Depth=3
	global_load_dwordx4 v[24:27], v[8:9], off
	v_mov_b32_e32 v20, s57
	ds_read_b128 v[28:31], v20 offset:32
	s_waitcnt vmcnt(0) lgkmcnt(0)
	v_mul_f64 v[20:21], v[26:27], v[30:31]
	v_mul_f64 v[26:27], v[26:27], v[28:29]
	v_fmac_f64_e32 v[20:21], v[24:25], v[28:29]
	v_fma_f64 v[24:25], v[24:25], v[30:31], -v[26:27]
	v_add_f64 v[6:7], v[6:7], v[20:21]
	v_add_f64 v[4:5], v[4:5], v[24:25]
.LBB6_94:                               ;   in Loop: Header=BB6_79 Depth=3
	s_or_b64 exec, exec, s[54:55]
.LBB6_95:                               ;   in Loop: Header=BB6_79 Depth=3
	s_andn2_saveexec_b64 s[52:53], s[52:53]
	s_cbranch_execz .LBB6_97
; %bb.96:                               ;   in Loop: Header=BB6_79 Depth=3
	v_mov_b32_e32 v20, s57
	ds_read_b128 v[24:27], v20 offset:32
	s_waitcnt lgkmcnt(0)
	v_add_f64 v[6:7], v[6:7], v[24:25]
	v_add_f64 v[4:5], v[4:5], v[26:27]
.LBB6_97:                               ;   in Loop: Header=BB6_79 Depth=3
	s_or_b64 exec, exec, s[52:53]
	v_cmp_ne_u32_e32 vcc, s56, v13
	s_or_b64 s[52:53], s[44:45], vcc
	s_and_saveexec_b64 s[54:55], s[52:53]
	s_xor_b64 s[52:53], exec, s[54:55]
	s_cbranch_execz .LBB6_101
; %bb.98:                               ;   in Loop: Header=BB6_79 Depth=3
	s_add_i32 s58, s58, 3
	s_cmp_lt_i32 s58, s21
	s_cselect_b64 s[54:55], -1, 0
	v_cmp_ge_i32_e32 vcc, s58, v12
	s_and_b64 s[58:59], s[54:55], vcc
	s_and_saveexec_b64 s[54:55], s[58:59]
	s_cbranch_execz .LBB6_100
; %bb.99:                               ;   in Loop: Header=BB6_79 Depth=3
	global_load_dwordx4 v[24:27], v[8:9], off offset:16
	v_mov_b32_e32 v20, s57
	ds_read_b128 v[28:31], v20 offset:48
	s_waitcnt vmcnt(0) lgkmcnt(0)
	v_mul_f64 v[20:21], v[26:27], v[30:31]
	v_mul_f64 v[26:27], v[26:27], v[28:29]
	v_fmac_f64_e32 v[20:21], v[24:25], v[28:29]
	v_fma_f64 v[24:25], v[24:25], v[30:31], -v[26:27]
	v_add_f64 v[6:7], v[6:7], v[20:21]
	v_add_f64 v[4:5], v[4:5], v[24:25]
.LBB6_100:                              ;   in Loop: Header=BB6_79 Depth=3
	s_or_b64 exec, exec, s[54:55]
.LBB6_101:                              ;   in Loop: Header=BB6_79 Depth=3
	s_andn2_saveexec_b64 s[52:53], s[52:53]
	s_cbranch_execz .LBB6_78
; %bb.102:                              ;   in Loop: Header=BB6_79 Depth=3
	v_mov_b32_e32 v20, s57
	ds_read_b128 v[24:27], v20 offset:48
	s_waitcnt lgkmcnt(0)
	v_add_f64 v[6:7], v[6:7], v[24:25]
	v_add_f64 v[4:5], v[4:5], v[26:27]
	s_branch .LBB6_78
.LBB6_103:                              ;   in Loop: Header=BB6_58 Depth=1
	s_or_b64 exec, exec, s[46:47]
.LBB6_104:                              ;   in Loop: Header=BB6_58 Depth=1
	s_and_saveexec_b64 s[46:47], s[0:1]
	s_cbranch_execz .LBB6_57
; %bb.105:                              ;   in Loop: Header=BB6_58 Depth=1
	v_mad_u64_u32 v[6:7], s[0:1], s16, v23, 0
	ds_read2_b64 v[2:5], v1 offset1:1
	v_mov_b32_e32 v8, v7
	v_mad_u64_u32 v[8:9], s[0:1], s17, v23, v[8:9]
	v_mov_b32_e32 v7, v8
	v_lshl_add_u64 v[6:7], v[6:7], 4, s[10:11]
	s_waitcnt lgkmcnt(0)
	global_store_dwordx4 v[6:7], v[2:5], off
	s_branch .LBB6_57
.LBB6_106:
	s_mov_b64 s[0:1], 0
.LBB6_107:
	s_andn2_b64 vcc, exec, s[0:1]
	s_cbranch_vccnz .LBB6_189
; %bb.108:
	s_mov_b64 s[0:1], -1
	s_and_b64 vcc, exec, s[36:37]
	s_cbranch_vccz .LBB6_149
; %bb.109:
	s_andn2_b64 vcc, exec, s[12:13]
	s_cbranch_vccnz .LBB6_148
; %bb.110:
	s_lshl_b64 s[14:15], s[8:9], 13
	s_lshl_b64 s[18:19], s[8:9], 4
	s_add_u32 s2, s28, s30
	s_addc_u32 s3, s29, s31
	s_add_u32 s0, s4, s2
	s_addc_u32 s1, s5, s3
	;; [unrolled: 2-line block ×3, first 2 shown]
	s_lshl_b64 s[0:1], s[8:9], 5
	s_add_u32 s2, s2, s18
	s_addc_u32 s3, s3, s19
	s_add_u32 s2, s4, s2
	s_addc_u32 s3, s5, s3
	s_add_u32 s38, s2, -8
	s_addc_u32 s39, s3, -1
	s_add_u32 s20, s0, 0xffffffe0
	v_lshlrev_b32_e32 v1, 4, v0
	v_or_b32_e32 v14, 0x200, v0
	s_addc_u32 s23, s1, -1
	s_mov_b32 s33, 0
	s_mov_b64 s[40:41], 0
	s_xor_b64 s[42:43], s[24:25], -1
	v_mov_b32_e32 v17, 0
	s_branch .LBB6_112
.LBB6_111:                              ;   in Loop: Header=BB6_112 Depth=1
	s_or_b64 exec, exec, s[44:45]
	s_add_u32 s34, s34, s14
	s_addc_u32 s35, s35, s15
	s_add_u32 s36, s36, s14
	s_addc_u32 s37, s37, s15
	s_add_u32 s40, s40, 0xfffffe00
	s_addc_u32 s41, s41, -1
	s_add_u32 s38, s38, s14
	v_add_u32_e32 v14, 0x200, v14
	s_addc_u32 s39, s39, s15
	s_and_b64 vcc, exec, s[2:3]
	s_mov_b32 s33, s62
	s_barrier
	s_cbranch_vccnz .LBB6_148
.LBB6_112:                              ; =>This Loop Header: Depth=1
                                        ;     Child Loop BB6_116 Depth 2
                                        ;     Child Loop BB6_130 Depth 2
                                        ;       Child Loop BB6_133 Depth 3
	v_add_u32_e32 v18, s33, v0
	v_cmp_le_i32_e32 vcc, s21, v18
	v_cmp_gt_i32_e64 s[0:1], s21, v18
	s_and_saveexec_b64 s[2:3], s[0:1]
	s_cbranch_execz .LBB6_114
; %bb.113:                              ;   in Loop: Header=BB6_112 Depth=1
	v_mad_u64_u32 v[2:3], s[44:45], s16, v18, 0
	v_mov_b32_e32 v4, v3
	v_mad_u64_u32 v[4:5], s[44:45], s17, v18, v[4:5]
	v_mov_b32_e32 v3, v4
	v_lshl_add_u64 v[2:3], v[2:3], 4, s[10:11]
	global_load_dwordx4 v[2:5], v[2:3], off
	s_waitcnt vmcnt(0)
	ds_write2_b64 v1, v[2:3], v[4:5] offset1:1
.LBB6_114:                              ;   in Loop: Header=BB6_112 Depth=1
	s_or_b64 exec, exec, s[2:3]
	v_subrev_u32_e32 v15, s22, v18
	s_mov_b32 s52, 0
	s_xor_b64 s[44:45], vcc, -1
	s_mov_b64 s[46:47], s[36:37]
	s_mov_b64 s[48:49], s[34:35]
	v_mov_b32_e32 v16, v0
	s_mov_b32 s53, 0
	s_waitcnt lgkmcnt(0)
	s_barrier
	s_branch .LBB6_116
.LBB6_115:                              ;   in Loop: Header=BB6_116 Depth=2
                                        ; implicit-def: $sgpr53
                                        ; implicit-def: $sgpr52
                                        ; implicit-def: $sgpr48_sgpr49
                                        ; implicit-def: $sgpr46_sgpr47
	s_cbranch_execnz .LBB6_126
.LBB6_116:                              ;   Parent Loop BB6_112 Depth=1
                                        ; =>  This Inner Loop Header: Depth=2
	s_add_i32 s54, s33, s53
	s_cmp_ge_i32 s54, s21
	s_cbranch_scc1 .LBB6_115
; %bb.117:                              ;   in Loop: Header=BB6_116 Depth=2
	v_cmp_eq_u32_e32 vcc, s53, v0
	s_and_b64 s[50:51], s[42:43], vcc
	s_and_saveexec_b64 s[2:3], s[50:51]
	s_cbranch_execz .LBB6_123
; %bb.118:                              ;   in Loop: Header=BB6_116 Depth=2
	global_load_dwordx4 v[2:5], v17, s[48:49]
	ds_read_b128 v[6:9], v1
	s_mov_b64 s[50:51], -1
                                        ; implicit-def: $vgpr10_vgpr11
	s_waitcnt vmcnt(0)
	v_cmp_ngt_f64_e64 s[56:57], |v[2:3]|, |v[4:5]|
	s_and_b64 vcc, exec, s[56:57]
	s_cbranch_vccz .LBB6_120
; %bb.119:                              ;   in Loop: Header=BB6_116 Depth=2
	v_div_scale_f64 v[10:11], s[50:51], v[4:5], v[4:5], v[2:3]
	v_rcp_f64_e32 v[12:13], v[10:11]
	v_div_scale_f64 v[20:21], vcc, v[2:3], v[4:5], v[2:3]
	v_fma_f64 v[22:23], -v[10:11], v[12:13], 1.0
	v_fmac_f64_e32 v[12:13], v[12:13], v[22:23]
	v_fma_f64 v[22:23], -v[10:11], v[12:13], 1.0
	v_fmac_f64_e32 v[12:13], v[12:13], v[22:23]
	v_mul_f64 v[22:23], v[20:21], v[12:13]
	v_fma_f64 v[10:11], -v[10:11], v[22:23], v[20:21]
	v_div_fmas_f64 v[10:11], v[10:11], v[12:13], v[22:23]
	v_div_fixup_f64 v[12:13], v[10:11], v[4:5], v[2:3]
	v_fma_f64 v[10:11], v[2:3], v[12:13], v[4:5]
	v_div_scale_f64 v[20:21], s[50:51], v[10:11], v[10:11], 1.0
	v_rcp_f64_e32 v[22:23], v[20:21]
	s_mov_b64 s[50:51], 0
	v_fma_f64 v[24:25], -v[20:21], v[22:23], 1.0
	v_fmac_f64_e32 v[22:23], v[22:23], v[24:25]
	v_fma_f64 v[24:25], -v[20:21], v[22:23], 1.0
	v_fmac_f64_e32 v[22:23], v[22:23], v[24:25]
	v_div_scale_f64 v[24:25], vcc, 1.0, v[10:11], 1.0
	v_mul_f64 v[26:27], v[24:25], v[22:23]
	v_fma_f64 v[20:21], -v[20:21], v[26:27], v[24:25]
	s_nop 1
	v_div_fmas_f64 v[20:21], v[20:21], v[22:23], v[26:27]
	v_div_fixup_f64 v[20:21], v[20:21], v[10:11], 1.0
	s_waitcnt lgkmcnt(0)
	v_fma_f64 v[10:11], v[12:13], v[6:7], v[8:9]
	v_fma_f64 v[12:13], v[12:13], v[8:9], -v[6:7]
	v_mul_f64 v[10:11], v[10:11], v[20:21]
	v_mul_f64 v[12:13], v[20:21], v[12:13]
.LBB6_120:                              ;   in Loop: Header=BB6_116 Depth=2
	s_andn2_b64 vcc, exec, s[50:51]
	s_cbranch_vccnz .LBB6_122
; %bb.121:                              ;   in Loop: Header=BB6_116 Depth=2
	v_div_scale_f64 v[10:11], s[50:51], v[2:3], v[2:3], v[4:5]
	v_rcp_f64_e32 v[12:13], v[10:11]
	v_div_scale_f64 v[20:21], vcc, v[4:5], v[2:3], v[4:5]
	v_fma_f64 v[22:23], -v[10:11], v[12:13], 1.0
	v_fmac_f64_e32 v[12:13], v[12:13], v[22:23]
	v_fma_f64 v[22:23], -v[10:11], v[12:13], 1.0
	v_fmac_f64_e32 v[12:13], v[12:13], v[22:23]
	v_mul_f64 v[22:23], v[20:21], v[12:13]
	v_fma_f64 v[10:11], -v[10:11], v[22:23], v[20:21]
	v_div_fmas_f64 v[10:11], v[10:11], v[12:13], v[22:23]
	v_div_fixup_f64 v[12:13], v[10:11], v[2:3], v[4:5]
	v_fmac_f64_e32 v[2:3], v[4:5], v[12:13]
	v_div_scale_f64 v[4:5], s[50:51], v[2:3], v[2:3], 1.0
	v_rcp_f64_e32 v[10:11], v[4:5]
	s_nop 0
	v_fma_f64 v[20:21], -v[4:5], v[10:11], 1.0
	v_fmac_f64_e32 v[10:11], v[10:11], v[20:21]
	v_fma_f64 v[20:21], -v[4:5], v[10:11], 1.0
	v_fmac_f64_e32 v[10:11], v[10:11], v[20:21]
	v_div_scale_f64 v[20:21], vcc, 1.0, v[2:3], 1.0
	v_mul_f64 v[22:23], v[20:21], v[10:11]
	v_fma_f64 v[4:5], -v[4:5], v[22:23], v[20:21]
	s_nop 1
	v_div_fmas_f64 v[4:5], v[4:5], v[10:11], v[22:23]
	v_div_fixup_f64 v[2:3], v[4:5], v[2:3], 1.0
	s_waitcnt lgkmcnt(0)
	v_fma_f64 v[4:5], v[12:13], v[8:9], v[6:7]
	v_mul_f64 v[10:11], v[2:3], v[4:5]
	v_fma_f64 v[4:5], -v[12:13], v[6:7], v[8:9]
	v_mul_f64 v[12:13], v[4:5], v[2:3]
.LBB6_122:                              ;   in Loop: Header=BB6_116 Depth=2
	ds_write_b128 v1, v[10:13]
.LBB6_123:                              ;   in Loop: Header=BB6_116 Depth=2
	s_or_b64 exec, exec, s[2:3]
	v_cmp_lt_u32_e32 vcc, s53, v0
	v_cmp_ge_i32_e64 s[2:3], s54, v15
	s_and_b64 s[50:51], s[44:45], vcc
	s_and_b64 s[50:51], s[50:51], s[2:3]
	s_waitcnt lgkmcnt(0)
	s_barrier
	s_and_saveexec_b64 s[2:3], s[50:51]
	s_cbranch_execz .LBB6_125
; %bb.124:                              ;   in Loop: Header=BB6_116 Depth=2
	v_lshl_add_u64 v[2:3], v[16:17], 4, s[46:47]
	global_load_dwordx4 v[2:5], v[2:3], off offset:-8
	v_mov_b32_e32 v6, s52
	ds_read_b128 v[6:9], v6
	ds_read_b128 v[10:13], v1
	s_waitcnt vmcnt(0) lgkmcnt(1)
	v_mul_f64 v[20:21], v[4:5], v[8:9]
	v_mul_f64 v[8:9], v[2:3], v[8:9]
	v_fma_f64 v[2:3], v[2:3], v[6:7], -v[20:21]
	v_fmac_f64_e32 v[8:9], v[4:5], v[6:7]
	s_waitcnt lgkmcnt(0)
	v_add_f64 v[2:3], v[10:11], -v[2:3]
	v_add_f64 v[4:5], v[12:13], -v[8:9]
	ds_write_b128 v1, v[2:5]
.LBB6_125:                              ;   in Loop: Header=BB6_116 Depth=2
	s_or_b64 exec, exec, s[2:3]
	s_add_i32 s53, s53, 1
	s_add_i32 s52, s52, 16
	s_add_u32 s48, s48, s18
	s_addc_u32 s49, s49, s19
	s_add_u32 s46, s46, s18
	s_addc_u32 s47, s47, s19
	s_cmpk_eq_i32 s53, 0x200
	v_add_u32_e32 v16, -1, v16
	s_cselect_b64 s[2:3], -1, 0
	s_and_b64 vcc, exec, s[2:3]
	s_cbranch_vccz .LBB6_116
.LBB6_126:                              ;   in Loop: Header=BB6_112 Depth=1
	s_add_i32 s62, s33, 0x200
	s_cmp_ge_i32 s62, s21
	s_cselect_b64 s[2:3], -1, 0
	s_and_b64 vcc, exec, s[2:3]
	s_waitcnt lgkmcnt(0)
	s_barrier
	s_cbranch_vccnz .LBB6_146
; %bb.127:                              ;   in Loop: Header=BB6_112 Depth=1
	v_ashrrev_i32_e32 v15, 31, v14
	v_lshl_add_u64 v[2:3], s[40:41], 0, v[14:15]
	v_lshlrev_b64 v[2:3], 4, v[2:3]
	s_mov_b64 s[44:45], 0
	s_mov_b64 s[46:47], s[36:37]
	v_mov_b32_e32 v8, v0
	s_mov_b64 s[48:49], s[38:39]
	s_mov_b32 s63, s62
                                        ; implicit-def: $sgpr50_sgpr51
	s_branch .LBB6_130
.LBB6_128:                              ;   in Loop: Header=BB6_130 Depth=2
	v_mad_u64_u32 v[10:11], s[54:55], s16, v9, 0
	v_mov_b32_e32 v12, v11
	v_mad_u64_u32 v[12:13], s[54:55], s17, v9, v[12:13]
	v_mov_b32_e32 v11, v12
	v_lshl_add_u64 v[20:21], v[10:11], 4, s[10:11]
	global_load_dwordx4 v[10:13], v[20:21], off
	s_addk_i32 s63, 0x200
	s_add_u32 s48, s48, 0x2000
	s_addc_u32 s49, s49, 0
	s_add_u32 s46, s46, 0x2000
	s_addc_u32 s47, s47, 0
	s_cmp_ge_i32 s63, s21
	s_cselect_b64 s[54:55], -1, 0
	s_andn2_b64 s[50:51], s[50:51], exec
	s_and_b64 s[54:55], s[54:55], exec
	s_or_b64 s[50:51], s[50:51], s[54:55]
	s_waitcnt vmcnt(0)
	v_add_f64 v[10:11], v[10:11], -v[6:7]
	v_add_f64 v[12:13], v[12:13], -v[4:5]
	global_store_dwordx4 v[20:21], v[10:13], off
.LBB6_129:                              ;   in Loop: Header=BB6_130 Depth=2
	s_or_b64 exec, exec, s[52:53]
	s_and_b64 s[52:53], exec, s[50:51]
	s_or_b64 s[44:45], s[52:53], s[44:45]
	s_andn2_b64 exec, exec, s[44:45]
	s_cbranch_execz .LBB6_145
.LBB6_130:                              ;   Parent Loop BB6_112 Depth=1
                                        ; =>  This Loop Header: Depth=2
                                        ;       Child Loop BB6_133 Depth 3
	v_add_u32_e32 v9, s63, v0
	v_cmp_gt_i32_e32 vcc, s21, v9
	s_or_b64 s[50:51], s[50:51], exec
	s_and_saveexec_b64 s[52:53], vcc
	s_cbranch_execz .LBB6_129
; %bb.131:                              ;   in Loop: Header=BB6_130 Depth=2
	v_subrev_u32_e32 v10, s22, v9
	v_add_u32_e32 v11, 0x1ff, v8
	v_add_u32_e32 v8, 0x200, v8
	v_mov_b64_e32 v[4:5], 0
	s_mov_b32 s64, 0
	s_mov_b64 s[54:55], s[46:47]
	s_mov_b64 s[56:57], s[48:49]
	s_mov_b32 s65, 0
	v_mov_b64_e32 v[6:7], 0
	s_branch .LBB6_133
.LBB6_132:                              ;   in Loop: Header=BB6_133 Depth=3
	s_or_b64 exec, exec, s[58:59]
	s_add_i32 s65, s65, 2
	s_add_u32 s56, s56, s20
	s_addc_u32 s57, s57, s23
	s_add_i32 s64, s64, 32
	s_add_u32 s54, s54, s20
	s_addc_u32 s55, s55, s23
	s_cmpk_eq_i32 s65, 0x200
	s_cbranch_scc1 .LBB6_128
.LBB6_133:                              ;   Parent Loop BB6_112 Depth=1
                                        ;     Parent Loop BB6_130 Depth=2
                                        ; =>    This Inner Loop Header: Depth=3
	v_cmp_ne_u32_e32 vcc, s65, v8
	s_add_i32 s66, s33, s65
	s_or_b64 s[58:59], s[42:43], vcc
	s_and_saveexec_b64 s[60:61], s[58:59]
	s_xor_b64 s[58:59], exec, s[60:61]
	s_cbranch_execz .LBB6_137
; %bb.134:                              ;   in Loop: Header=BB6_133 Depth=3
	s_cmp_lt_i32 s66, s21
	s_cselect_b64 s[60:61], -1, 0
	v_cmp_ge_i32_e32 vcc, s66, v10
	s_and_b64 s[68:69], s[60:61], vcc
	s_and_saveexec_b64 s[60:61], s[68:69]
	s_cbranch_execz .LBB6_136
; %bb.135:                              ;   in Loop: Header=BB6_133 Depth=3
	v_lshl_add_u64 v[12:13], s[54:55], 0, v[2:3]
	global_load_dwordx4 v[20:23], v[12:13], off offset:-8
	v_mov_b32_e32 v12, s64
	ds_read_b128 v[24:27], v12
	s_waitcnt vmcnt(0) lgkmcnt(0)
	v_mul_f64 v[12:13], v[22:23], v[26:27]
	v_mul_f64 v[26:27], v[20:21], v[26:27]
	v_fma_f64 v[12:13], v[20:21], v[24:25], -v[12:13]
	v_fmac_f64_e32 v[26:27], v[22:23], v[24:25]
	v_add_f64 v[6:7], v[6:7], v[12:13]
	v_add_f64 v[4:5], v[4:5], v[26:27]
.LBB6_136:                              ;   in Loop: Header=BB6_133 Depth=3
	s_or_b64 exec, exec, s[60:61]
.LBB6_137:                              ;   in Loop: Header=BB6_133 Depth=3
	s_andn2_saveexec_b64 s[58:59], s[58:59]
	s_cbranch_execz .LBB6_139
; %bb.138:                              ;   in Loop: Header=BB6_133 Depth=3
	v_mov_b32_e32 v12, s64
	ds_read_b128 v[20:23], v12
	s_waitcnt lgkmcnt(0)
	v_add_f64 v[6:7], v[6:7], v[20:21]
	v_add_f64 v[4:5], v[4:5], v[22:23]
.LBB6_139:                              ;   in Loop: Header=BB6_133 Depth=3
	s_or_b64 exec, exec, s[58:59]
	v_cmp_ne_u32_e32 vcc, s65, v11
	s_or_b64 s[58:59], s[42:43], vcc
	s_and_saveexec_b64 s[60:61], s[58:59]
	s_xor_b64 s[58:59], exec, s[60:61]
	s_cbranch_execz .LBB6_143
; %bb.140:                              ;   in Loop: Header=BB6_133 Depth=3
	s_add_i32 s66, s66, 1
	s_cmp_lt_i32 s66, s21
	s_cselect_b64 s[60:61], -1, 0
	v_cmp_ge_i32_e32 vcc, s66, v10
	s_and_b64 s[66:67], s[60:61], vcc
	s_and_saveexec_b64 s[60:61], s[66:67]
	s_cbranch_execz .LBB6_142
; %bb.141:                              ;   in Loop: Header=BB6_133 Depth=3
	v_lshl_add_u64 v[12:13], s[56:57], 0, v[2:3]
	global_load_dwordx4 v[20:23], v[12:13], off offset:-8
	v_mov_b32_e32 v12, s64
	ds_read_b128 v[24:27], v12 offset:16
	s_waitcnt vmcnt(0) lgkmcnt(0)
	v_mul_f64 v[12:13], v[22:23], v[26:27]
	v_mul_f64 v[26:27], v[20:21], v[26:27]
	v_fma_f64 v[12:13], v[20:21], v[24:25], -v[12:13]
	v_fmac_f64_e32 v[26:27], v[22:23], v[24:25]
	v_add_f64 v[6:7], v[6:7], v[12:13]
	v_add_f64 v[4:5], v[4:5], v[26:27]
.LBB6_142:                              ;   in Loop: Header=BB6_133 Depth=3
	s_or_b64 exec, exec, s[60:61]
.LBB6_143:                              ;   in Loop: Header=BB6_133 Depth=3
	s_andn2_saveexec_b64 s[58:59], s[58:59]
	s_cbranch_execz .LBB6_132
; %bb.144:                              ;   in Loop: Header=BB6_133 Depth=3
	v_mov_b32_e32 v12, s64
	ds_read_b128 v[20:23], v12 offset:16
	s_waitcnt lgkmcnt(0)
	v_add_f64 v[6:7], v[6:7], v[20:21]
	v_add_f64 v[4:5], v[4:5], v[22:23]
	s_branch .LBB6_132
.LBB6_145:                              ;   in Loop: Header=BB6_112 Depth=1
	s_or_b64 exec, exec, s[44:45]
.LBB6_146:                              ;   in Loop: Header=BB6_112 Depth=1
	s_and_saveexec_b64 s[44:45], s[0:1]
	s_cbranch_execz .LBB6_111
; %bb.147:                              ;   in Loop: Header=BB6_112 Depth=1
	v_mad_u64_u32 v[6:7], s[0:1], s16, v18, 0
	ds_read2_b64 v[2:5], v1 offset1:1
	v_mov_b32_e32 v8, v7
	v_mad_u64_u32 v[8:9], s[0:1], s17, v18, v[8:9]
	v_mov_b32_e32 v7, v8
	v_lshl_add_u64 v[6:7], v[6:7], 4, s[10:11]
	s_waitcnt lgkmcnt(0)
	global_store_dwordx4 v[6:7], v[2:5], off
	s_branch .LBB6_111
.LBB6_148:
	s_mov_b64 s[0:1], 0
.LBB6_149:
	s_andn2_b64 vcc, exec, s[0:1]
	s_cbranch_vccnz .LBB6_189
; %bb.150:
	s_andn2_b64 vcc, exec, s[12:13]
	s_cbranch_vccnz .LBB6_189
; %bb.151:
	s_add_i32 s34, s21, 0xfffffe00
	s_add_i32 s12, s21, -1
	s_add_u32 s2, s28, s30
	s_addc_u32 s3, s29, s31
	s_ashr_i32 s23, s22, 31
	s_lshl_b64 s[0:1], s[22:23], 4
	s_add_u32 s2, s2, s0
	s_addc_u32 s3, s3, s1
	s_ashr_i32 s13, s12, 31
	s_lshl_b64 s[0:1], s[12:13], 4
	s_sub_u32 s0, s2, s0
	s_subb_u32 s1, s3, s1
	s_add_u32 s14, s4, s0
	s_addc_u32 s15, s5, s1
	s_lshl_b64 s[18:19], s[8:9], 4
	s_add_u32 s13, s18, 16
	s_addc_u32 s20, s19, 0
	s_or_b32 s0, s0, 8
	s_add_u32 s28, s4, s0
	s_addc_u32 s29, s5, s1
	s_add_u32 s0, s6, s26
	s_addc_u32 s1, s7, s27
	;; [unrolled: 2-line block ×3, first 2 shown]
	s_ashr_i32 s3, s21, 31
	s_mov_b32 s2, s21
	s_lshl_b64 s[0:1], s[0:1], 4
	s_lshl_b64 s[2:3], s[2:3], 4
	s_sub_u32 s0, s0, s2
	s_subb_u32 s1, s1, s3
	s_add_u32 s0, s4, s0
	s_addc_u32 s1, s5, s1
	s_add_u32 s4, s0, 0x1ff8
	s_addc_u32 s5, s1, 0
	s_add_i32 s23, s21, 0xfffffe01
	s_add_u32 s6, s0, 0x1ff0
	s_addc_u32 s7, s1, 0
	s_add_u32 s33, s0, 0x2000
	s_addc_u32 s46, s1, 0
	s_lshl_b64 s[0:1], s[8:9], 5
	v_mov_b32_e32 v1, 0x4000
	v_add_u32_e32 v2, s21, v0
	s_add_u32 s47, s0, 0xffffffe0
	v_lshl_or_b32 v1, v0, 4, v1
	v_add_u32_e32 v14, 0xfffffe00, v2
	v_add_u32_e32 v20, 0xfffffc00, v2
	s_addc_u32 s48, s1, -1
	v_mov_b32_e32 v17, 0
	s_xor_b64 s[8:9], s[24:25], -1
	s_branch .LBB6_153
.LBB6_152:                              ;   in Loop: Header=BB6_153 Depth=1
	s_or_b64 exec, exec, s[24:25]
	s_addk_i32 s12, 0xfe00
	s_add_u32 s14, s14, 0x2000
	s_addc_u32 s15, s15, 0
	s_add_u32 s28, s28, 0x2000
	s_addc_u32 s29, s29, 0
	s_addk_i32 s21, 0xfe00
	s_add_u32 s4, s4, 0x2000
	s_addc_u32 s5, s5, 0
	s_addk_i32 s23, 0xfe00
	s_add_u32 s6, s6, 0x2000
	s_addc_u32 s7, s7, 0
	s_add_u32 s33, s33, 0x2000
	v_add_u32_e32 v14, 0xfffffe00, v14
	v_add_u32_e32 v20, 0xfffffe00, v20
	s_addc_u32 s46, s46, 0
	s_and_b64 vcc, exec, s[2:3]
	s_mov_b32 s34, s49
	s_barrier
	s_cbranch_vccnz .LBB6_189
.LBB6_153:                              ; =>This Loop Header: Depth=1
                                        ;     Child Loop BB6_157 Depth 2
                                        ;     Child Loop BB6_171 Depth 2
                                        ;       Child Loop BB6_174 Depth 3
	v_add_u32_e32 v21, s34, v0
	v_cmp_gt_i32_e32 vcc, 0, v21
	v_cmp_lt_i32_e64 s[0:1], -1, v21
	s_and_saveexec_b64 s[2:3], s[0:1]
	s_cbranch_execz .LBB6_155
; %bb.154:                              ;   in Loop: Header=BB6_153 Depth=1
	v_mad_u64_u32 v[2:3], s[24:25], s16, v21, 0
	v_mov_b32_e32 v4, v3
	v_mad_u64_u32 v[4:5], s[24:25], s17, v21, v[4:5]
	v_mov_b32_e32 v3, v4
	v_lshl_add_u64 v[2:3], v[2:3], 4, s[10:11]
	global_load_dwordx4 v[2:5], v[2:3], off
	s_waitcnt vmcnt(0)
	ds_write2_b64 v1, v[2:3], v[4:5] offset1:1
.LBB6_155:                              ;   in Loop: Header=BB6_153 Depth=1
	s_or_b64 exec, exec, s[2:3]
	v_mov_b32_e32 v15, v17
	v_lshl_add_u64 v[18:19], v[14:15], 4, s[28:29]
	v_add_u32_e32 v15, s22, v21
	s_movk_i32 s35, 0x1ff
	s_movk_i32 s36, 0x5ff0
	s_xor_b64 s[24:25], vcc, -1
	s_mov_b32 s37, s12
	s_mov_b64 s[26:27], s[14:15]
	s_waitcnt lgkmcnt(0)
	s_barrier
	s_branch .LBB6_157
.LBB6_156:                              ;   in Loop: Header=BB6_157 Depth=2
                                        ; implicit-def: $sgpr35
                                        ; implicit-def: $sgpr36
                                        ; implicit-def: $sgpr26_sgpr27
                                        ; implicit-def: $sgpr37
                                        ; implicit-def: $vgpr18_vgpr19
	s_cbranch_execnz .LBB6_167
.LBB6_157:                              ;   Parent Loop BB6_153 Depth=1
                                        ; =>  This Inner Loop Header: Depth=2
	s_add_i32 s38, s12, s35
	s_addk_i32 s38, 0xfe01
	s_cmp_lt_i32 s38, 0
	s_cbranch_scc1 .LBB6_156
; %bb.158:                              ;   in Loop: Header=BB6_157 Depth=2
	v_cmp_eq_u32_e32 vcc, s35, v0
	s_and_b64 s[30:31], s[8:9], vcc
	s_and_saveexec_b64 s[2:3], s[30:31]
	s_cbranch_execz .LBB6_164
; %bb.159:                              ;   in Loop: Header=BB6_157 Depth=2
	s_mul_i32 s30, s20, s37
	s_mul_hi_u32 s31, s13, s37
	s_add_i32 s31, s31, s30
	s_mul_i32 s30, s13, s37
	s_add_u32 s30, s26, s30
	s_addc_u32 s31, s27, s31
	global_load_dwordx4 v[2:5], v17, s[30:31]
	ds_read_b128 v[6:9], v1
	s_mov_b64 s[30:31], -1
                                        ; implicit-def: $vgpr10_vgpr11
	s_waitcnt vmcnt(0)
	v_cmp_ngt_f64_e64 s[40:41], |v[2:3]|, |v[4:5]|
	s_and_b64 vcc, exec, s[40:41]
	s_cbranch_vccz .LBB6_161
; %bb.160:                              ;   in Loop: Header=BB6_157 Depth=2
	v_div_scale_f64 v[10:11], s[30:31], v[4:5], v[4:5], v[2:3]
	v_rcp_f64_e32 v[12:13], v[10:11]
	v_div_scale_f64 v[22:23], vcc, v[2:3], v[4:5], v[2:3]
	v_fma_f64 v[24:25], -v[10:11], v[12:13], 1.0
	v_fmac_f64_e32 v[12:13], v[12:13], v[24:25]
	v_fma_f64 v[24:25], -v[10:11], v[12:13], 1.0
	v_fmac_f64_e32 v[12:13], v[12:13], v[24:25]
	v_mul_f64 v[24:25], v[22:23], v[12:13]
	v_fma_f64 v[10:11], -v[10:11], v[24:25], v[22:23]
	v_div_fmas_f64 v[10:11], v[10:11], v[12:13], v[24:25]
	v_div_fixup_f64 v[12:13], v[10:11], v[4:5], v[2:3]
	v_fma_f64 v[10:11], v[2:3], v[12:13], v[4:5]
	v_div_scale_f64 v[22:23], s[30:31], v[10:11], v[10:11], 1.0
	v_rcp_f64_e32 v[24:25], v[22:23]
	s_mov_b64 s[30:31], 0
	v_fma_f64 v[26:27], -v[22:23], v[24:25], 1.0
	v_fmac_f64_e32 v[24:25], v[24:25], v[26:27]
	v_fma_f64 v[26:27], -v[22:23], v[24:25], 1.0
	v_fmac_f64_e32 v[24:25], v[24:25], v[26:27]
	v_div_scale_f64 v[26:27], vcc, 1.0, v[10:11], 1.0
	v_mul_f64 v[28:29], v[26:27], v[24:25]
	v_fma_f64 v[22:23], -v[22:23], v[28:29], v[26:27]
	s_nop 1
	v_div_fmas_f64 v[22:23], v[22:23], v[24:25], v[28:29]
	v_div_fixup_f64 v[22:23], v[22:23], v[10:11], 1.0
	s_waitcnt lgkmcnt(0)
	v_fma_f64 v[10:11], v[12:13], v[6:7], v[8:9]
	v_fma_f64 v[12:13], v[12:13], v[8:9], -v[6:7]
	v_mul_f64 v[10:11], v[10:11], v[22:23]
	v_mul_f64 v[12:13], v[22:23], v[12:13]
.LBB6_161:                              ;   in Loop: Header=BB6_157 Depth=2
	s_andn2_b64 vcc, exec, s[30:31]
	s_cbranch_vccnz .LBB6_163
; %bb.162:                              ;   in Loop: Header=BB6_157 Depth=2
	v_div_scale_f64 v[10:11], s[30:31], v[2:3], v[2:3], v[4:5]
	v_rcp_f64_e32 v[12:13], v[10:11]
	v_div_scale_f64 v[22:23], vcc, v[4:5], v[2:3], v[4:5]
	v_fma_f64 v[24:25], -v[10:11], v[12:13], 1.0
	v_fmac_f64_e32 v[12:13], v[12:13], v[24:25]
	v_fma_f64 v[24:25], -v[10:11], v[12:13], 1.0
	v_fmac_f64_e32 v[12:13], v[12:13], v[24:25]
	v_mul_f64 v[24:25], v[22:23], v[12:13]
	v_fma_f64 v[10:11], -v[10:11], v[24:25], v[22:23]
	v_div_fmas_f64 v[10:11], v[10:11], v[12:13], v[24:25]
	v_div_fixup_f64 v[12:13], v[10:11], v[2:3], v[4:5]
	v_fmac_f64_e32 v[2:3], v[4:5], v[12:13]
	v_div_scale_f64 v[4:5], s[30:31], v[2:3], v[2:3], 1.0
	v_rcp_f64_e32 v[10:11], v[4:5]
	s_nop 0
	v_fma_f64 v[22:23], -v[4:5], v[10:11], 1.0
	v_fmac_f64_e32 v[10:11], v[10:11], v[22:23]
	v_fma_f64 v[22:23], -v[4:5], v[10:11], 1.0
	v_fmac_f64_e32 v[10:11], v[10:11], v[22:23]
	v_div_scale_f64 v[22:23], vcc, 1.0, v[2:3], 1.0
	v_mul_f64 v[24:25], v[22:23], v[10:11]
	v_fma_f64 v[4:5], -v[4:5], v[24:25], v[22:23]
	s_nop 1
	v_div_fmas_f64 v[4:5], v[4:5], v[10:11], v[24:25]
	v_div_fixup_f64 v[2:3], v[4:5], v[2:3], 1.0
	s_waitcnt lgkmcnt(0)
	v_fma_f64 v[4:5], v[12:13], v[8:9], v[6:7]
	v_mul_f64 v[10:11], v[2:3], v[4:5]
	v_fma_f64 v[4:5], -v[12:13], v[6:7], v[8:9]
	v_mul_f64 v[12:13], v[4:5], v[2:3]
.LBB6_163:                              ;   in Loop: Header=BB6_157 Depth=2
	ds_write_b128 v1, v[10:13]
.LBB6_164:                              ;   in Loop: Header=BB6_157 Depth=2
	s_or_b64 exec, exec, s[2:3]
	v_cmp_gt_u32_e32 vcc, s35, v0
	v_cmp_le_i32_e64 s[2:3], s38, v15
	s_and_b64 s[30:31], s[24:25], vcc
	s_and_b64 s[30:31], s[30:31], s[2:3]
	s_waitcnt lgkmcnt(0)
	s_barrier
	s_and_saveexec_b64 s[2:3], s[30:31]
	s_cbranch_execz .LBB6_166
; %bb.165:                              ;   in Loop: Header=BB6_157 Depth=2
	v_mov_b32_e32 v2, s37
	v_mad_u64_u32 v[2:3], s[30:31], s18, v2, v[18:19]
	s_mul_i32 s30, s19, s37
	s_nop 0
	v_add_u32_e32 v3, s30, v3
	global_load_dwordx4 v[2:5], v[2:3], off offset:-8
	v_mov_b32_e32 v6, s36
	ds_read_b128 v[6:9], v6
	ds_read_b128 v[10:13], v1
	s_waitcnt vmcnt(0) lgkmcnt(1)
	v_mul_f64 v[22:23], v[4:5], v[8:9]
	v_mul_f64 v[8:9], v[2:3], v[8:9]
	v_fma_f64 v[2:3], v[2:3], v[6:7], -v[22:23]
	v_fmac_f64_e32 v[8:9], v[4:5], v[6:7]
	s_waitcnt lgkmcnt(0)
	v_add_f64 v[2:3], v[10:11], -v[2:3]
	v_add_f64 v[4:5], v[12:13], -v[8:9]
	ds_write_b128 v1, v[2:5]
.LBB6_166:                              ;   in Loop: Header=BB6_157 Depth=2
	s_or_b64 exec, exec, s[2:3]
	s_add_i32 s35, s35, -1
	s_add_i32 s36, s36, -16
	s_add_u32 s26, s26, 16
	s_addc_u32 s27, s27, 0
	s_add_i32 s37, s37, -1
	s_cmp_eq_u32 s35, -1
	v_lshl_add_u64 v[18:19], v[18:19], 0, 16
	s_cselect_b64 s[2:3], -1, 0
	s_and_b64 vcc, exec, s[2:3]
	s_cbranch_vccz .LBB6_157
.LBB6_167:                              ;   in Loop: Header=BB6_153 Depth=1
	s_add_i32 s49, s34, 0xfffffe00
	s_cmp_lt_i32 s34, 1
	s_cselect_b64 s[2:3], -1, 0
	s_and_b64 vcc, exec, s[2:3]
	s_waitcnt lgkmcnt(0)
	s_barrier
	s_cbranch_vccnz .LBB6_187
; %bb.168:                              ;   in Loop: Header=BB6_153 Depth=1
	s_mul_i32 s24, s19, s34
	s_mul_hi_u32 s25, s18, s34
	s_add_i32 s25, s25, s24
	s_mul_i32 s24, s18, s34
	s_add_u32 s24, s33, s24
	s_addc_u32 s25, s46, s25
	s_mov_b64 s[26:27], 0
	v_mov_b32_e32 v16, v20
	v_mov_b32_e32 v8, v0
	s_mov_b32 s50, s49
                                        ; implicit-def: $sgpr30_sgpr31
	s_branch .LBB6_171
.LBB6_169:                              ;   in Loop: Header=BB6_171 Depth=2
	v_mad_u64_u32 v[6:7], s[36:37], s16, v9, 0
	v_mov_b32_e32 v10, v7
	v_mad_u64_u32 v[10:11], s[36:37], s17, v9, v[10:11]
	v_mov_b32_e32 v7, v10
	v_lshl_add_u64 v[18:19], v[6:7], 4, s[10:11]
	global_load_dwordx4 v[10:13], v[18:19], off
	s_add_i32 s38, s50, 0xfffffe00
	s_cmp_lt_i32 s50, 1
	s_cselect_b64 s[36:37], -1, 0
	s_andn2_b64 s[30:31], s[30:31], exec
	s_and_b64 s[36:37], s[36:37], exec
	v_add_u32_e32 v16, 0xfffffe00, v16
	s_or_b64 s[30:31], s[30:31], s[36:37]
	s_mov_b32 s50, s38
	s_waitcnt vmcnt(0)
	v_add_f64 v[4:5], v[10:11], -v[4:5]
	v_add_f64 v[6:7], v[12:13], -v[2:3]
	global_store_dwordx4 v[18:19], v[4:7], off
.LBB6_170:                              ;   in Loop: Header=BB6_171 Depth=2
	s_or_b64 exec, exec, s[34:35]
	s_and_b64 s[34:35], exec, s[30:31]
	s_or_b64 s[26:27], s[34:35], s[26:27]
	s_andn2_b64 exec, exec, s[26:27]
	s_cbranch_execz .LBB6_186
.LBB6_171:                              ;   Parent Loop BB6_153 Depth=1
                                        ; =>  This Loop Header: Depth=2
                                        ;       Child Loop BB6_174 Depth 3
	v_add_u32_e32 v9, s50, v0
	v_cmp_lt_i32_e32 vcc, -1, v9
	s_or_b64 s[30:31], s[30:31], exec
	s_and_saveexec_b64 s[34:35], vcc
	s_cbranch_execz .LBB6_170
; %bb.172:                              ;   in Loop: Header=BB6_171 Depth=2
	v_lshlrev_b64 v[6:7], 4, v[16:17]
	v_add_u32_e32 v10, s22, v9
	v_add_u32_e32 v11, 0xfffffdff, v8
	;; [unrolled: 1-line block ×3, first 2 shown]
	v_mov_b64_e32 v[2:3], 0
	s_mov_b32 s51, 0
	s_movk_i32 s52, 0x4000
	s_mov_b64 s[36:37], s[24:25]
	s_mov_b64 s[38:39], s[6:7]
	s_mov_b32 s53, s23
	s_mov_b64 s[40:41], s[4:5]
	v_mov_b64_e32 v[4:5], 0
	s_branch .LBB6_174
.LBB6_173:                              ;   in Loop: Header=BB6_174 Depth=3
	s_or_b64 exec, exec, s[42:43]
	s_add_i32 s51, s51, 2
	s_add_i32 s52, s52, 32
	s_add_u32 s40, s40, 0xffffffe0
	s_addc_u32 s41, s41, -1
	s_add_i32 s53, s53, 2
	s_add_u32 s38, s38, 0xffffffe0
	s_addc_u32 s39, s39, -1
	s_add_u32 s36, s36, s47
	s_addc_u32 s37, s37, s48
	s_cmpk_eq_i32 s51, 0x200
	s_cbranch_scc1 .LBB6_169
.LBB6_174:                              ;   Parent Loop BB6_153 Depth=1
                                        ;     Parent Loop BB6_171 Depth=2
                                        ; =>    This Inner Loop Header: Depth=3
	v_cmp_ne_u32_e32 vcc, s51, v8
	s_add_i32 s54, s21, s51
	s_or_b64 s[42:43], s[8:9], vcc
	s_and_saveexec_b64 s[44:45], s[42:43]
	s_xor_b64 s[42:43], exec, s[44:45]
	s_cbranch_execz .LBB6_178
; %bb.175:                              ;   in Loop: Header=BB6_174 Depth=3
	s_add_i32 s44, s54, 0xfffffe00
	v_cmp_le_i32_e32 vcc, s44, v10
	s_and_saveexec_b64 s[44:45], vcc
	s_cbranch_execz .LBB6_177
; %bb.176:                              ;   in Loop: Header=BB6_174 Depth=3
	v_lshl_add_u64 v[12:13], s[36:37], 0, v[6:7]
	global_load_dwordx4 v[22:25], v[12:13], off
	v_mov_b32_e32 v12, s52
	ds_read_b128 v[26:29], v12
	s_waitcnt vmcnt(0) lgkmcnt(0)
	v_mul_f64 v[12:13], v[24:25], v[28:29]
	v_mul_f64 v[18:19], v[22:23], v[28:29]
	v_fma_f64 v[12:13], v[22:23], v[26:27], -v[12:13]
	v_fmac_f64_e32 v[18:19], v[24:25], v[26:27]
	v_add_f64 v[4:5], v[4:5], v[12:13]
	v_add_f64 v[2:3], v[2:3], v[18:19]
.LBB6_177:                              ;   in Loop: Header=BB6_174 Depth=3
	s_or_b64 exec, exec, s[44:45]
.LBB6_178:                              ;   in Loop: Header=BB6_174 Depth=3
	s_andn2_saveexec_b64 s[42:43], s[42:43]
	s_cbranch_execz .LBB6_180
; %bb.179:                              ;   in Loop: Header=BB6_174 Depth=3
	v_mov_b32_e32 v12, s52
	ds_read_b128 v[22:25], v12
	s_waitcnt lgkmcnt(0)
	v_add_f64 v[4:5], v[4:5], v[22:23]
	v_add_f64 v[2:3], v[2:3], v[24:25]
.LBB6_180:                              ;   in Loop: Header=BB6_174 Depth=3
	s_or_b64 exec, exec, s[42:43]
	v_cmp_ne_u32_e32 vcc, s51, v11
	s_or_b64 s[42:43], s[8:9], vcc
	s_and_saveexec_b64 s[44:45], s[42:43]
	s_xor_b64 s[42:43], exec, s[44:45]
	s_cbranch_execz .LBB6_184
; %bb.181:                              ;   in Loop: Header=BB6_174 Depth=3
	s_addk_i32 s54, 0xfe01
	v_cmp_le_i32_e32 vcc, s54, v10
	s_and_saveexec_b64 s[44:45], vcc
	s_cbranch_execz .LBB6_183
; %bb.182:                              ;   in Loop: Header=BB6_174 Depth=3
	s_mul_i32 s54, s19, s53
	s_mul_hi_u32 s55, s18, s53
	s_add_i32 s57, s55, s54
	s_mul_i32 s56, s18, s53
	s_add_u32 s54, s40, s56
	s_addc_u32 s55, s41, s57
	s_add_u32 s56, s38, s56
	s_addc_u32 s57, s39, s57
	v_lshl_add_u64 v[12:13], s[56:57], 0, v[6:7]
	v_lshl_add_u64 v[18:19], s[54:55], 0, v[6:7]
	global_load_dwordx2 v[18:19], v[18:19], off
	s_nop 0
	global_load_dwordx2 v[12:13], v[12:13], off
	v_mov_b32_e32 v15, s52
	ds_read_b128 v[22:25], v15 offset:16
	s_waitcnt vmcnt(1) lgkmcnt(0)
	v_mul_f64 v[26:27], v[18:19], v[24:25]
	s_waitcnt vmcnt(0)
	v_fma_f64 v[26:27], v[12:13], v[22:23], -v[26:27]
	v_mul_f64 v[12:13], v[12:13], v[24:25]
	v_fmac_f64_e32 v[12:13], v[18:19], v[22:23]
	v_add_f64 v[4:5], v[4:5], v[26:27]
	v_add_f64 v[2:3], v[2:3], v[12:13]
.LBB6_183:                              ;   in Loop: Header=BB6_174 Depth=3
	s_or_b64 exec, exec, s[44:45]
.LBB6_184:                              ;   in Loop: Header=BB6_174 Depth=3
	s_andn2_saveexec_b64 s[42:43], s[42:43]
	s_cbranch_execz .LBB6_173
; %bb.185:                              ;   in Loop: Header=BB6_174 Depth=3
	v_mov_b32_e32 v12, s52
	ds_read_b128 v[22:25], v12 offset:16
	s_waitcnt lgkmcnt(0)
	v_add_f64 v[4:5], v[4:5], v[22:23]
	v_add_f64 v[2:3], v[2:3], v[24:25]
	s_branch .LBB6_173
.LBB6_186:                              ;   in Loop: Header=BB6_153 Depth=1
	s_or_b64 exec, exec, s[26:27]
.LBB6_187:                              ;   in Loop: Header=BB6_153 Depth=1
	s_and_saveexec_b64 s[24:25], s[0:1]
	s_cbranch_execz .LBB6_152
; %bb.188:                              ;   in Loop: Header=BB6_153 Depth=1
	v_mad_u64_u32 v[6:7], s[0:1], s16, v21, 0
	ds_read2_b64 v[2:5], v1 offset1:1
	v_mov_b32_e32 v8, v7
	v_mad_u64_u32 v[8:9], s[0:1], s17, v21, v[8:9]
	v_mov_b32_e32 v7, v8
	v_lshl_add_u64 v[6:7], v[6:7], 4, s[10:11]
	s_waitcnt lgkmcnt(0)
	global_store_dwordx4 v[6:7], v[2:5], off
	s_branch .LBB6_152
.LBB6_189:
	s_endpgm
	.section	.rodata,"a",@progbits
	.p2align	6, 0x0
	.amdhsa_kernel _ZL19rocblas_tbsv_kernelILb1ELi512EPK19rocblas_complex_numIdEPS1_Ev18rocblas_operation_bbiiT1_lllT2_lll
		.amdhsa_group_segment_fixed_size 32768
		.amdhsa_private_segment_fixed_size 0
		.amdhsa_kernarg_size 80
		.amdhsa_user_sgpr_count 2
		.amdhsa_user_sgpr_dispatch_ptr 0
		.amdhsa_user_sgpr_queue_ptr 0
		.amdhsa_user_sgpr_kernarg_segment_ptr 1
		.amdhsa_user_sgpr_dispatch_id 0
		.amdhsa_user_sgpr_kernarg_preload_length 0
		.amdhsa_user_sgpr_kernarg_preload_offset 0
		.amdhsa_user_sgpr_private_segment_size 0
		.amdhsa_uses_dynamic_stack 0
		.amdhsa_enable_private_segment 0
		.amdhsa_system_sgpr_workgroup_id_x 1
		.amdhsa_system_sgpr_workgroup_id_y 0
		.amdhsa_system_sgpr_workgroup_id_z 0
		.amdhsa_system_sgpr_workgroup_info 0
		.amdhsa_system_vgpr_workitem_id 0
		.amdhsa_next_free_vgpr 34
		.amdhsa_next_free_sgpr 70
		.amdhsa_accum_offset 36
		.amdhsa_reserve_vcc 1
		.amdhsa_float_round_mode_32 0
		.amdhsa_float_round_mode_16_64 0
		.amdhsa_float_denorm_mode_32 3
		.amdhsa_float_denorm_mode_16_64 3
		.amdhsa_dx10_clamp 1
		.amdhsa_ieee_mode 1
		.amdhsa_fp16_overflow 0
		.amdhsa_tg_split 0
		.amdhsa_exception_fp_ieee_invalid_op 0
		.amdhsa_exception_fp_denorm_src 0
		.amdhsa_exception_fp_ieee_div_zero 0
		.amdhsa_exception_fp_ieee_overflow 0
		.amdhsa_exception_fp_ieee_underflow 0
		.amdhsa_exception_fp_ieee_inexact 0
		.amdhsa_exception_int_div_zero 0
	.end_amdhsa_kernel
	.section	.text._ZL19rocblas_tbsv_kernelILb1ELi512EPK19rocblas_complex_numIdEPS1_Ev18rocblas_operation_bbiiT1_lllT2_lll,"axG",@progbits,_ZL19rocblas_tbsv_kernelILb1ELi512EPK19rocblas_complex_numIdEPS1_Ev18rocblas_operation_bbiiT1_lllT2_lll,comdat
.Lfunc_end6:
	.size	_ZL19rocblas_tbsv_kernelILb1ELi512EPK19rocblas_complex_numIdEPS1_Ev18rocblas_operation_bbiiT1_lllT2_lll, .Lfunc_end6-_ZL19rocblas_tbsv_kernelILb1ELi512EPK19rocblas_complex_numIdEPS1_Ev18rocblas_operation_bbiiT1_lllT2_lll
                                        ; -- End function
	.set _ZL19rocblas_tbsv_kernelILb1ELi512EPK19rocblas_complex_numIdEPS1_Ev18rocblas_operation_bbiiT1_lllT2_lll.num_vgpr, 34
	.set _ZL19rocblas_tbsv_kernelILb1ELi512EPK19rocblas_complex_numIdEPS1_Ev18rocblas_operation_bbiiT1_lllT2_lll.num_agpr, 0
	.set _ZL19rocblas_tbsv_kernelILb1ELi512EPK19rocblas_complex_numIdEPS1_Ev18rocblas_operation_bbiiT1_lllT2_lll.numbered_sgpr, 70
	.set _ZL19rocblas_tbsv_kernelILb1ELi512EPK19rocblas_complex_numIdEPS1_Ev18rocblas_operation_bbiiT1_lllT2_lll.num_named_barrier, 0
	.set _ZL19rocblas_tbsv_kernelILb1ELi512EPK19rocblas_complex_numIdEPS1_Ev18rocblas_operation_bbiiT1_lllT2_lll.private_seg_size, 0
	.set _ZL19rocblas_tbsv_kernelILb1ELi512EPK19rocblas_complex_numIdEPS1_Ev18rocblas_operation_bbiiT1_lllT2_lll.uses_vcc, 1
	.set _ZL19rocblas_tbsv_kernelILb1ELi512EPK19rocblas_complex_numIdEPS1_Ev18rocblas_operation_bbiiT1_lllT2_lll.uses_flat_scratch, 0
	.set _ZL19rocblas_tbsv_kernelILb1ELi512EPK19rocblas_complex_numIdEPS1_Ev18rocblas_operation_bbiiT1_lllT2_lll.has_dyn_sized_stack, 0
	.set _ZL19rocblas_tbsv_kernelILb1ELi512EPK19rocblas_complex_numIdEPS1_Ev18rocblas_operation_bbiiT1_lllT2_lll.has_recursion, 0
	.set _ZL19rocblas_tbsv_kernelILb1ELi512EPK19rocblas_complex_numIdEPS1_Ev18rocblas_operation_bbiiT1_lllT2_lll.has_indirect_call, 0
	.section	.AMDGPU.csdata,"",@progbits
; Kernel info:
; codeLenInByte = 8024
; TotalNumSgprs: 76
; NumVgprs: 34
; NumAgprs: 0
; TotalNumVgprs: 34
; ScratchSize: 0
; MemoryBound: 0
; FloatMode: 240
; IeeeMode: 1
; LDSByteSize: 32768 bytes/workgroup (compile time only)
; SGPRBlocks: 9
; VGPRBlocks: 4
; NumSGPRsForWavesPerEU: 76
; NumVGPRsForWavesPerEU: 34
; AccumOffset: 36
; Occupancy: 8
; WaveLimiterHint : 0
; COMPUTE_PGM_RSRC2:SCRATCH_EN: 0
; COMPUTE_PGM_RSRC2:USER_SGPR: 2
; COMPUTE_PGM_RSRC2:TRAP_HANDLER: 0
; COMPUTE_PGM_RSRC2:TGID_X_EN: 1
; COMPUTE_PGM_RSRC2:TGID_Y_EN: 0
; COMPUTE_PGM_RSRC2:TGID_Z_EN: 0
; COMPUTE_PGM_RSRC2:TIDIG_COMP_CNT: 0
; COMPUTE_PGM_RSRC3_GFX90A:ACCUM_OFFSET: 8
; COMPUTE_PGM_RSRC3_GFX90A:TG_SPLIT: 0
	.section	.text._ZL19rocblas_tbsv_kernelILb0ELi512EPK19rocblas_complex_numIdEPS1_Ev18rocblas_operation_bbiiT1_lllT2_lll,"axG",@progbits,_ZL19rocblas_tbsv_kernelILb0ELi512EPK19rocblas_complex_numIdEPS1_Ev18rocblas_operation_bbiiT1_lllT2_lll,comdat
	.globl	_ZL19rocblas_tbsv_kernelILb0ELi512EPK19rocblas_complex_numIdEPS1_Ev18rocblas_operation_bbiiT1_lllT2_lll ; -- Begin function _ZL19rocblas_tbsv_kernelILb0ELi512EPK19rocblas_complex_numIdEPS1_Ev18rocblas_operation_bbiiT1_lllT2_lll
	.p2align	8
	.type	_ZL19rocblas_tbsv_kernelILb0ELi512EPK19rocblas_complex_numIdEPS1_Ev18rocblas_operation_bbiiT1_lllT2_lll,@function
_ZL19rocblas_tbsv_kernelILb0ELi512EPK19rocblas_complex_numIdEPS1_Ev18rocblas_operation_bbiiT1_lllT2_lll: ; @_ZL19rocblas_tbsv_kernelILb0ELi512EPK19rocblas_complex_numIdEPS1_Ev18rocblas_operation_bbiiT1_lllT2_lll
; %bb.0:
	s_load_dwordx2 s[38:39], s[0:1], 0x0
	s_load_dwordx4 s[20:23], s[0:1], 0x4
	s_load_dwordx16 s[4:19], s[0:1], 0x10
	s_waitcnt lgkmcnt(0)
	s_bitcmp1_b32 s39, 0
	s_cselect_b64 s[0:1], -1, 0
	s_xor_b64 s[36:37], s[0:1], -1
	s_bitcmp1_b32 s20, 8
	s_mul_i32 s0, s11, s2
	s_mul_hi_u32 s1, s10, s2
	s_cselect_b64 s[24:25], -1, 0
	s_add_i32 s27, s1, s0
	s_mul_i32 s26, s10, s2
	s_lshl_b64 s[28:29], s[26:27], 4
	s_add_u32 s0, s4, s28
	s_addc_u32 s1, s5, s29
	s_lshl_b64 s[30:31], s[6:7], 4
	s_add_u32 s34, s0, s30
	s_addc_u32 s35, s1, s31
	s_mul_i32 s0, s19, s2
	s_mul_hi_u32 s1, s18, s2
	s_add_i32 s1, s1, s0
	s_mul_i32 s0, s18, s2
	s_lshl_b64 s[0:1], s[0:1], 4
	s_add_u32 s2, s12, s0
	s_addc_u32 s3, s13, s1
	s_lshl_b64 s[0:1], s[14:15], 4
	s_add_u32 s10, s2, s0
	s_addc_u32 s11, s3, s1
	s_cmp_gt_i32 s21, 0
	s_cselect_b64 s[12:13], -1, 0
	s_cmpk_lg_i32 s38, 0x6f
	s_mov_b64 s[0:1], -1
	s_cbranch_scc0 .LBB7_107
; %bb.1:
	s_and_b64 vcc, exec, s[36:37]
	s_cbranch_vccz .LBB7_54
; %bb.2:
	s_andn2_b64 vcc, exec, s[12:13]
	s_cbranch_vccnz .LBB7_53
; %bb.3:
	s_add_i32 s46, s21, 0xfffffe00
	s_add_i32 s20, s21, -1
	s_add_u32 s2, s28, s30
	s_addc_u32 s3, s29, s31
	s_ashr_i32 s1, s21, 31
	s_mov_b32 s0, s21
	s_lshl_b64 s[0:1], s[0:1], 4
	s_add_u32 s0, s2, s0
	s_addc_u32 s1, s3, s1
	s_add_u32 s0, s4, s0
	s_addc_u32 s1, s5, s1
	v_mov_b32_e32 v1, 0x6000
	s_add_u32 s14, s0, 0xffffe020
	v_add_u32_e32 v2, s21, v0
	v_lshl_or_b32 v1, v0, 4, v1
	v_sub_u32_e32 v18, 0, v0
	s_addc_u32 s15, s1, -1
	v_add_u32_e32 v19, 0xfffffc00, v2
	s_lshl_b64 s[18:19], s[8:9], 4
	s_xor_b64 s[38:39], s[24:25], -1
	v_mov_b32_e32 v15, 0
	s_mov_b64 s[40:41], 0x2000
	s_mov_b32 s23, s21
	s_branch .LBB7_5
.LBB7_4:                                ;   in Loop: Header=BB7_5 Depth=1
	s_or_b64 exec, exec, s[42:43]
	s_addk_i32 s20, 0xfe00
	s_addk_i32 s23, 0xfe00
	s_add_u32 s14, s14, 0xffffe000
	s_addc_u32 s15, s15, -1
	v_add_u32_e32 v19, 0xfffffe00, v19
	s_andn2_b64 vcc, exec, s[2:3]
	s_mov_b32 s46, s33
	s_barrier
	s_cbranch_vccz .LBB7_53
.LBB7_5:                                ; =>This Loop Header: Depth=1
                                        ;     Child Loop BB7_10 Depth 2
                                        ;     Child Loop BB7_23 Depth 2
                                        ;       Child Loop BB7_26 Depth 3
	v_add_u32_e32 v20, s46, v0
	v_cmp_gt_i32_e32 vcc, 0, v20
	v_cmp_lt_i32_e64 s[0:1], -1, v20
	s_and_saveexec_b64 s[2:3], s[0:1]
	s_cbranch_execz .LBB7_7
; %bb.6:                                ;   in Loop: Header=BB7_5 Depth=1
	v_mad_u64_u32 v[2:3], s[42:43], s16, v20, 0
	v_mov_b32_e32 v4, v3
	v_mad_u64_u32 v[4:5], s[42:43], s17, v20, v[4:5]
	v_mov_b32_e32 v3, v4
	v_lshl_add_u64 v[2:3], v[2:3], 4, s[10:11]
	global_load_dwordx4 v[2:5], v[2:3], off
	s_waitcnt vmcnt(0)
	ds_write2_b64 v1, v[2:3], v[4:5] offset1:1
.LBB7_7:                                ;   in Loop: Header=BB7_5 Depth=1
	s_or_b64 exec, exec, s[2:3]
	v_ashrrev_i32_e32 v2, 31, v20
	v_mul_lo_u32 v4, s9, v20
	v_mul_lo_u32 v5, s8, v2
	v_mad_u64_u32 v[2:3], s[2:3], s8, v20, 0
	v_add3_u32 v3, v3, v5, v4
	v_add_u32_e32 v21, s22, v20
	v_lshl_add_u64 v[16:17], v[2:3], 4, s[34:35]
	s_movk_i32 s33, 0x1ff
	s_movk_i32 s47, 0x7ff0
	s_xor_b64 s[42:43], vcc, -1
	s_waitcnt lgkmcnt(0)
	s_barrier
	s_branch .LBB7_10
.LBB7_8:                                ;   in Loop: Header=BB7_10 Depth=2
	s_or_b64 exec, exec, s[2:3]
	s_add_i32 s33, s33, -1
	s_add_i32 s47, s47, -16
	s_cmp_eq_u32 s33, -1
	s_cselect_b64 s[2:3], -1, 0
.LBB7_9:                                ;   in Loop: Header=BB7_10 Depth=2
	s_and_b64 vcc, exec, s[2:3]
	s_cbranch_vccnz .LBB7_19
.LBB7_10:                               ;   Parent Loop BB7_5 Depth=1
                                        ; =>  This Inner Loop Header: Depth=2
	s_add_i32 s48, s20, s33
	s_addk_i32 s48, 0xfe01
	s_cmp_lt_i32 s48, 0
	s_mov_b64 s[2:3], -1
	s_cbranch_scc1 .LBB7_9
; %bb.11:                               ;   in Loop: Header=BB7_10 Depth=2
	v_add_u32_e32 v14, s33, v18
	v_cmp_eq_u32_e32 vcc, 0, v14
	s_and_b64 s[44:45], s[38:39], vcc
	s_and_saveexec_b64 s[2:3], s[44:45]
	s_cbranch_execz .LBB7_17
; %bb.12:                               ;   in Loop: Header=BB7_10 Depth=2
	s_mul_i32 s44, s9, s48
	s_mul_hi_u32 s45, s8, s48
	s_add_i32 s45, s45, s44
	s_mul_i32 s44, s8, s48
	s_lshl_b64 s[44:45], s[44:45], 4
	s_add_u32 s44, s34, s44
	s_addc_u32 s45, s35, s45
	global_load_dwordx4 v[2:5], v15, s[44:45]
	ds_read_b128 v[6:9], v1
	s_mov_b64 s[44:45], -1
                                        ; implicit-def: $vgpr10_vgpr11
	s_waitcnt vmcnt(0)
	v_cmp_ngt_f64_e64 s[50:51], |v[2:3]|, |v[4:5]|
	s_and_b64 vcc, exec, s[50:51]
	s_cbranch_vccz .LBB7_14
; %bb.13:                               ;   in Loop: Header=BB7_10 Depth=2
	v_div_scale_f64 v[10:11], s[44:45], v[4:5], v[4:5], v[2:3]
	v_rcp_f64_e32 v[12:13], v[10:11]
	v_div_scale_f64 v[22:23], vcc, v[2:3], v[4:5], v[2:3]
	v_fma_f64 v[24:25], -v[10:11], v[12:13], 1.0
	v_fmac_f64_e32 v[12:13], v[12:13], v[24:25]
	v_fma_f64 v[24:25], -v[10:11], v[12:13], 1.0
	v_fmac_f64_e32 v[12:13], v[12:13], v[24:25]
	v_mul_f64 v[24:25], v[22:23], v[12:13]
	v_fma_f64 v[10:11], -v[10:11], v[24:25], v[22:23]
	v_div_fmas_f64 v[10:11], v[10:11], v[12:13], v[24:25]
	v_div_fixup_f64 v[12:13], v[10:11], v[4:5], v[2:3]
	v_fma_f64 v[10:11], v[2:3], v[12:13], v[4:5]
	v_div_scale_f64 v[22:23], s[44:45], v[10:11], v[10:11], 1.0
	v_rcp_f64_e32 v[24:25], v[22:23]
	s_mov_b64 s[44:45], 0
	v_fma_f64 v[26:27], -v[22:23], v[24:25], 1.0
	v_fmac_f64_e32 v[24:25], v[24:25], v[26:27]
	v_fma_f64 v[26:27], -v[22:23], v[24:25], 1.0
	v_fmac_f64_e32 v[24:25], v[24:25], v[26:27]
	v_div_scale_f64 v[26:27], vcc, 1.0, v[10:11], 1.0
	v_mul_f64 v[28:29], v[26:27], v[24:25]
	v_fma_f64 v[22:23], -v[22:23], v[28:29], v[26:27]
	s_nop 1
	v_div_fmas_f64 v[22:23], v[22:23], v[24:25], v[28:29]
	v_div_fixup_f64 v[22:23], v[22:23], v[10:11], 1.0
	s_waitcnt lgkmcnt(0)
	v_fma_f64 v[10:11], v[12:13], v[6:7], v[8:9]
	v_fma_f64 v[12:13], v[12:13], v[8:9], -v[6:7]
	v_mul_f64 v[10:11], v[10:11], v[22:23]
	v_mul_f64 v[12:13], v[22:23], v[12:13]
.LBB7_14:                               ;   in Loop: Header=BB7_10 Depth=2
	s_andn2_b64 vcc, exec, s[44:45]
	s_cbranch_vccnz .LBB7_16
; %bb.15:                               ;   in Loop: Header=BB7_10 Depth=2
	v_div_scale_f64 v[10:11], s[44:45], v[2:3], v[2:3], v[4:5]
	v_rcp_f64_e32 v[12:13], v[10:11]
	v_div_scale_f64 v[22:23], vcc, v[4:5], v[2:3], v[4:5]
	v_fma_f64 v[24:25], -v[10:11], v[12:13], 1.0
	v_fmac_f64_e32 v[12:13], v[12:13], v[24:25]
	v_fma_f64 v[24:25], -v[10:11], v[12:13], 1.0
	v_fmac_f64_e32 v[12:13], v[12:13], v[24:25]
	v_mul_f64 v[24:25], v[22:23], v[12:13]
	v_fma_f64 v[10:11], -v[10:11], v[24:25], v[22:23]
	v_div_fmas_f64 v[10:11], v[10:11], v[12:13], v[24:25]
	v_div_fixup_f64 v[12:13], v[10:11], v[2:3], v[4:5]
	v_fmac_f64_e32 v[2:3], v[4:5], v[12:13]
	v_div_scale_f64 v[4:5], s[44:45], v[2:3], v[2:3], 1.0
	v_rcp_f64_e32 v[10:11], v[4:5]
	s_nop 0
	v_fma_f64 v[22:23], -v[4:5], v[10:11], 1.0
	v_fmac_f64_e32 v[10:11], v[10:11], v[22:23]
	v_fma_f64 v[22:23], -v[4:5], v[10:11], 1.0
	v_fmac_f64_e32 v[10:11], v[10:11], v[22:23]
	v_div_scale_f64 v[22:23], vcc, 1.0, v[2:3], 1.0
	v_mul_f64 v[24:25], v[22:23], v[10:11]
	v_fma_f64 v[4:5], -v[4:5], v[24:25], v[22:23]
	s_nop 1
	v_div_fmas_f64 v[4:5], v[4:5], v[10:11], v[24:25]
	v_div_fixup_f64 v[2:3], v[4:5], v[2:3], 1.0
	s_waitcnt lgkmcnt(0)
	v_fma_f64 v[4:5], v[12:13], v[8:9], v[6:7]
	v_mul_f64 v[10:11], v[2:3], v[4:5]
	v_fma_f64 v[4:5], -v[12:13], v[6:7], v[8:9]
	v_mul_f64 v[12:13], v[4:5], v[2:3]
.LBB7_16:                               ;   in Loop: Header=BB7_10 Depth=2
	ds_write_b128 v1, v[10:13]
.LBB7_17:                               ;   in Loop: Header=BB7_10 Depth=2
	s_or_b64 exec, exec, s[2:3]
	v_cmp_gt_u32_e32 vcc, s33, v0
	v_cmp_le_i32_e64 s[2:3], s48, v21
	s_and_b64 s[44:45], s[42:43], vcc
	s_and_b64 s[44:45], s[44:45], s[2:3]
	s_waitcnt lgkmcnt(0)
	s_barrier
	s_and_saveexec_b64 s[2:3], s[44:45]
	s_cbranch_execz .LBB7_8
; %bb.18:                               ;   in Loop: Header=BB7_10 Depth=2
	v_lshl_add_u64 v[2:3], v[14:15], 4, v[16:17]
	global_load_dwordx4 v[2:5], v[2:3], off
	v_mov_b32_e32 v6, s47
	ds_read_b128 v[6:9], v6
	ds_read_b128 v[10:13], v1
	s_waitcnt vmcnt(0) lgkmcnt(1)
	v_mul_f64 v[22:23], v[4:5], v[8:9]
	v_mul_f64 v[8:9], v[2:3], v[8:9]
	v_fma_f64 v[2:3], v[2:3], v[6:7], -v[22:23]
	v_fmac_f64_e32 v[8:9], v[4:5], v[6:7]
	s_waitcnt lgkmcnt(0)
	v_add_f64 v[2:3], v[10:11], -v[2:3]
	v_add_f64 v[4:5], v[12:13], -v[8:9]
	ds_write_b128 v1, v[2:5]
	s_branch .LBB7_8
.LBB7_19:                               ;   in Loop: Header=BB7_5 Depth=1
	s_add_i32 s33, s46, 0xfffffe00
	s_cmp_lt_i32 s46, 1
	s_cselect_b64 s[2:3], -1, 0
	s_and_b64 vcc, exec, s[2:3]
	s_waitcnt lgkmcnt(0)
	s_barrier
	s_cbranch_vccnz .LBB7_51
; %bb.20:                               ;   in Loop: Header=BB7_5 Depth=1
	v_mad_i64_i32 v[2:3], s[42:43], v19, -16, s[14:15]
	s_mov_b64 s[42:43], 0
	v_mov_b32_e32 v10, v19
	v_mov_b32_e32 v11, v0
	s_mov_b32 s52, s33
                                        ; implicit-def: $sgpr44_sgpr45
	s_branch .LBB7_23
.LBB7_21:                               ;   in Loop: Header=BB7_23 Depth=2
	v_mad_u64_u32 v[8:9], s[48:49], s16, v12, 0
	v_mov_b32_e32 v14, v9
	v_mad_u64_u32 v[12:13], s[48:49], s17, v12, v[14:15]
	v_mov_b32_e32 v9, v12
	v_lshl_add_u64 v[12:13], v[8:9], 4, s[10:11]
	global_load_dwordx4 v[22:25], v[12:13], off
	s_add_i32 s50, s52, 0xfffffe00
	s_cmp_lt_i32 s52, 1
	s_cselect_b64 s[48:49], -1, 0
	s_andn2_b64 s[44:45], s[44:45], exec
	s_and_b64 s[48:49], s[48:49], exec
	v_lshl_add_u64 v[2:3], v[2:3], 0, s[40:41]
	v_add_u32_e32 v10, 0xfffffe00, v10
	s_or_b64 s[44:45], s[44:45], s[48:49]
	s_mov_b32 s52, s50
	s_waitcnt vmcnt(0)
	v_add_f64 v[6:7], v[22:23], -v[6:7]
	v_add_f64 v[8:9], v[24:25], -v[4:5]
	global_store_dwordx4 v[12:13], v[6:9], off
.LBB7_22:                               ;   in Loop: Header=BB7_23 Depth=2
	s_or_b64 exec, exec, s[46:47]
	s_and_b64 s[46:47], exec, s[44:45]
	s_or_b64 s[42:43], s[46:47], s[42:43]
	s_andn2_b64 exec, exec, s[42:43]
	s_cbranch_execz .LBB7_50
.LBB7_23:                               ;   Parent Loop BB7_5 Depth=1
                                        ; =>  This Loop Header: Depth=2
                                        ;       Child Loop BB7_26 Depth 3
	v_add_u32_e32 v12, s52, v0
	v_cmp_lt_i32_e32 vcc, -1, v12
	s_or_b64 s[44:45], s[44:45], exec
	s_and_saveexec_b64 s[46:47], vcc
	s_cbranch_execz .LBB7_22
; %bb.24:                               ;   in Loop: Header=BB7_23 Depth=2
	v_mad_u64_u32 v[8:9], s[48:49], s18, v10, v[2:3]
	v_mov_b32_e32 v4, v9
	v_mad_u64_u32 v[4:5], s[48:49], s19, v10, v[4:5]
	v_mov_b32_e32 v9, v4
	v_add_u32_e32 v13, s22, v12
	v_add_u32_e32 v14, 0xfffffdfd, v11
	v_add_u32_e32 v16, 0xfffffdfe, v11
	v_add_u32_e32 v17, 0xfffffdff, v11
	v_add_u32_e32 v11, 0xfffffe00, v11
	v_mov_b64_e32 v[4:5], 0
	s_mov_b32 s53, 0
	s_movk_i32 s54, 0x6000
	v_mov_b64_e32 v[6:7], 0
	s_branch .LBB7_26
.LBB7_25:                               ;   in Loop: Header=BB7_26 Depth=3
	s_or_b64 exec, exec, s[48:49]
	s_add_i32 s53, s53, 4
	s_add_i32 s54, s54, 64
	s_cmpk_eq_i32 s53, 0x200
	v_lshl_add_u64 v[8:9], v[8:9], 0, 64
	s_cbranch_scc1 .LBB7_21
.LBB7_26:                               ;   Parent Loop BB7_5 Depth=1
                                        ;     Parent Loop BB7_23 Depth=2
                                        ; =>    This Inner Loop Header: Depth=3
	v_cmp_ne_u32_e32 vcc, s53, v11
	s_add_i32 s55, s23, s53
	s_or_b64 s[48:49], s[38:39], vcc
	s_and_saveexec_b64 s[50:51], s[48:49]
	s_xor_b64 s[48:49], exec, s[50:51]
	s_cbranch_execz .LBB7_30
; %bb.27:                               ;   in Loop: Header=BB7_26 Depth=3
	s_add_i32 s50, s55, 0xfffffe00
	v_cmp_le_i32_e32 vcc, s50, v13
	s_and_saveexec_b64 s[50:51], vcc
	s_cbranch_execz .LBB7_29
; %bb.28:                               ;   in Loop: Header=BB7_26 Depth=3
	global_load_dwordx4 v[22:25], v[8:9], off offset:-32
	v_mov_b32_e32 v21, s54
	ds_read_b128 v[26:29], v21
	s_waitcnt vmcnt(0) lgkmcnt(0)
	v_mul_f64 v[30:31], v[24:25], v[28:29]
	v_mul_f64 v[28:29], v[22:23], v[28:29]
	v_fma_f64 v[22:23], v[22:23], v[26:27], -v[30:31]
	v_fmac_f64_e32 v[28:29], v[24:25], v[26:27]
	v_add_f64 v[6:7], v[6:7], v[22:23]
	v_add_f64 v[4:5], v[4:5], v[28:29]
.LBB7_29:                               ;   in Loop: Header=BB7_26 Depth=3
	s_or_b64 exec, exec, s[50:51]
.LBB7_30:                               ;   in Loop: Header=BB7_26 Depth=3
	s_andn2_saveexec_b64 s[48:49], s[48:49]
	s_cbranch_execz .LBB7_32
; %bb.31:                               ;   in Loop: Header=BB7_26 Depth=3
	v_mov_b32_e32 v21, s54
	ds_read_b128 v[22:25], v21
	s_waitcnt lgkmcnt(0)
	v_add_f64 v[6:7], v[6:7], v[22:23]
	v_add_f64 v[4:5], v[4:5], v[24:25]
.LBB7_32:                               ;   in Loop: Header=BB7_26 Depth=3
	s_or_b64 exec, exec, s[48:49]
	v_cmp_ne_u32_e32 vcc, s53, v17
	s_or_b64 s[48:49], s[38:39], vcc
	s_and_saveexec_b64 s[50:51], s[48:49]
	s_xor_b64 s[48:49], exec, s[50:51]
	s_cbranch_execz .LBB7_36
; %bb.33:                               ;   in Loop: Header=BB7_26 Depth=3
	s_add_i32 s50, s55, 0xfffffe01
	v_cmp_le_i32_e32 vcc, s50, v13
	s_and_saveexec_b64 s[50:51], vcc
	s_cbranch_execz .LBB7_35
; %bb.34:                               ;   in Loop: Header=BB7_26 Depth=3
	global_load_dwordx4 v[22:25], v[8:9], off offset:-16
	v_mov_b32_e32 v21, s54
	ds_read_b128 v[26:29], v21 offset:16
	s_waitcnt vmcnt(0) lgkmcnt(0)
	v_mul_f64 v[30:31], v[24:25], v[28:29]
	v_mul_f64 v[28:29], v[22:23], v[28:29]
	v_fma_f64 v[22:23], v[22:23], v[26:27], -v[30:31]
	v_fmac_f64_e32 v[28:29], v[24:25], v[26:27]
	v_add_f64 v[6:7], v[6:7], v[22:23]
	v_add_f64 v[4:5], v[4:5], v[28:29]
.LBB7_35:                               ;   in Loop: Header=BB7_26 Depth=3
	s_or_b64 exec, exec, s[50:51]
.LBB7_36:                               ;   in Loop: Header=BB7_26 Depth=3
	s_andn2_saveexec_b64 s[48:49], s[48:49]
	s_cbranch_execz .LBB7_38
; %bb.37:                               ;   in Loop: Header=BB7_26 Depth=3
	v_mov_b32_e32 v21, s54
	ds_read_b128 v[22:25], v21 offset:16
	s_waitcnt lgkmcnt(0)
	v_add_f64 v[6:7], v[6:7], v[22:23]
	v_add_f64 v[4:5], v[4:5], v[24:25]
.LBB7_38:                               ;   in Loop: Header=BB7_26 Depth=3
	s_or_b64 exec, exec, s[48:49]
	v_cmp_ne_u32_e32 vcc, s53, v16
	s_or_b64 s[48:49], s[38:39], vcc
	s_and_saveexec_b64 s[50:51], s[48:49]
	s_xor_b64 s[48:49], exec, s[50:51]
	s_cbranch_execz .LBB7_42
; %bb.39:                               ;   in Loop: Header=BB7_26 Depth=3
	s_add_i32 s50, s55, 0xfffffe02
	v_cmp_le_i32_e32 vcc, s50, v13
	s_and_saveexec_b64 s[50:51], vcc
	s_cbranch_execz .LBB7_41
; %bb.40:                               ;   in Loop: Header=BB7_26 Depth=3
	global_load_dwordx4 v[22:25], v[8:9], off
	v_mov_b32_e32 v21, s54
	ds_read_b128 v[26:29], v21 offset:32
	s_waitcnt vmcnt(0) lgkmcnt(0)
	v_mul_f64 v[30:31], v[24:25], v[28:29]
	v_mul_f64 v[28:29], v[22:23], v[28:29]
	v_fma_f64 v[22:23], v[22:23], v[26:27], -v[30:31]
	v_fmac_f64_e32 v[28:29], v[24:25], v[26:27]
	v_add_f64 v[6:7], v[6:7], v[22:23]
	v_add_f64 v[4:5], v[4:5], v[28:29]
.LBB7_41:                               ;   in Loop: Header=BB7_26 Depth=3
	s_or_b64 exec, exec, s[50:51]
.LBB7_42:                               ;   in Loop: Header=BB7_26 Depth=3
	s_andn2_saveexec_b64 s[48:49], s[48:49]
	s_cbranch_execz .LBB7_44
; %bb.43:                               ;   in Loop: Header=BB7_26 Depth=3
	v_mov_b32_e32 v21, s54
	ds_read_b128 v[22:25], v21 offset:32
	s_waitcnt lgkmcnt(0)
	v_add_f64 v[6:7], v[6:7], v[22:23]
	v_add_f64 v[4:5], v[4:5], v[24:25]
.LBB7_44:                               ;   in Loop: Header=BB7_26 Depth=3
	s_or_b64 exec, exec, s[48:49]
	v_cmp_ne_u32_e32 vcc, s53, v14
	s_or_b64 s[48:49], s[38:39], vcc
	s_and_saveexec_b64 s[50:51], s[48:49]
	s_xor_b64 s[48:49], exec, s[50:51]
	s_cbranch_execz .LBB7_48
; %bb.45:                               ;   in Loop: Header=BB7_26 Depth=3
	s_addk_i32 s55, 0xfe03
	v_cmp_le_i32_e32 vcc, s55, v13
	s_and_saveexec_b64 s[50:51], vcc
	s_cbranch_execz .LBB7_47
; %bb.46:                               ;   in Loop: Header=BB7_26 Depth=3
	global_load_dwordx4 v[22:25], v[8:9], off offset:16
	v_mov_b32_e32 v21, s54
	ds_read_b128 v[26:29], v21 offset:48
	s_waitcnt vmcnt(0) lgkmcnt(0)
	v_mul_f64 v[30:31], v[24:25], v[28:29]
	v_mul_f64 v[28:29], v[22:23], v[28:29]
	v_fma_f64 v[22:23], v[22:23], v[26:27], -v[30:31]
	v_fmac_f64_e32 v[28:29], v[24:25], v[26:27]
	v_add_f64 v[6:7], v[6:7], v[22:23]
	v_add_f64 v[4:5], v[4:5], v[28:29]
.LBB7_47:                               ;   in Loop: Header=BB7_26 Depth=3
	s_or_b64 exec, exec, s[50:51]
.LBB7_48:                               ;   in Loop: Header=BB7_26 Depth=3
	s_andn2_saveexec_b64 s[48:49], s[48:49]
	s_cbranch_execz .LBB7_25
; %bb.49:                               ;   in Loop: Header=BB7_26 Depth=3
	v_mov_b32_e32 v21, s54
	ds_read_b128 v[22:25], v21 offset:48
	s_waitcnt lgkmcnt(0)
	v_add_f64 v[6:7], v[6:7], v[22:23]
	v_add_f64 v[4:5], v[4:5], v[24:25]
	s_branch .LBB7_25
.LBB7_50:                               ;   in Loop: Header=BB7_5 Depth=1
	s_or_b64 exec, exec, s[42:43]
.LBB7_51:                               ;   in Loop: Header=BB7_5 Depth=1
	s_and_saveexec_b64 s[42:43], s[0:1]
	s_cbranch_execz .LBB7_4
; %bb.52:                               ;   in Loop: Header=BB7_5 Depth=1
	v_mad_u64_u32 v[6:7], s[0:1], s16, v20, 0
	ds_read2_b64 v[2:5], v1 offset1:1
	v_mov_b32_e32 v8, v7
	v_mad_u64_u32 v[8:9], s[0:1], s17, v20, v[8:9]
	v_mov_b32_e32 v7, v8
	v_lshl_add_u64 v[6:7], v[6:7], 4, s[10:11]
	s_waitcnt lgkmcnt(0)
	global_store_dwordx4 v[6:7], v[2:5], off
	s_branch .LBB7_4
.LBB7_53:
	s_mov_b64 s[0:1], 0
.LBB7_54:
	s_andn2_b64 vcc, exec, s[0:1]
	s_cbranch_vccnz .LBB7_106
; %bb.55:
	s_andn2_b64 vcc, exec, s[12:13]
	s_cbranch_vccnz .LBB7_106
; %bb.56:
	s_ashr_i32 s23, s22, 31
	s_lshl_b64 s[14:15], s[8:9], 4
	s_add_u32 s18, s14, -16
	s_addc_u32 s20, s15, -1
	s_lshl_b64 s[0:1], s[22:23], 4
	s_add_u32 s2, s4, s0
	s_addc_u32 s3, s5, s1
	s_add_u32 s2, s2, s30
	s_addc_u32 s3, s3, s31
	;; [unrolled: 2-line block ×3, first 2 shown]
	v_mov_b64_e32 v[2:3], s[2:3]
	v_mad_u64_u32 v[2:3], s[18:19], s18, v0, v[2:3]
	v_mov_b32_e32 v4, v3
	v_mad_u64_u32 v[4:5], s[18:19], s20, v0, v[4:5]
	s_lshl_b64 s[18:19], s[8:9], 13
	s_add_u32 s20, s28, s30
	s_addc_u32 s23, s29, s31
	s_add_u32 s0, s20, s0
	s_addc_u32 s1, s23, s1
	;; [unrolled: 2-line block ×3, first 2 shown]
	v_mov_b32_e32 v3, v4
	s_add_u32 s38, s0, 8
	v_or_b32_e32 v22, 0x200, v0
	v_lshl_add_u64 v[14:15], v[2:3], 0, 8
	s_addc_u32 s39, s1, 0
	v_mad_u64_u32 v[2:3], s[0:1], s8, v22, 0
	v_mov_b32_e32 v4, v3
	v_mad_u64_u32 v[4:5], s[0:1], s9, v22, v[4:5]
	s_add_u32 s40, s18, 0x2000
	v_mov_b32_e32 v3, v4
	s_addc_u32 s41, s19, 0
	v_mov_b32_e32 v1, 0x2000
	v_lshl_add_u64 v[2:3], v[2:3], 4, s[2:3]
	s_add_u32 s42, s18, 0xffffe000
	v_lshl_or_b32 v1, v0, 4, v1
	v_lshl_add_u64 v[16:17], v[2:3], 0, 32
	s_addc_u32 s43, s19, -1
	s_mov_b32 s20, 0
	s_xor_b64 s[44:45], s[24:25], -1
	s_branch .LBB7_58
.LBB7_57:                               ;   in Loop: Header=BB7_58 Depth=1
	s_or_b64 exec, exec, s[46:47]
	s_add_u32 s38, s38, s18
	v_lshl_add_u64 v[14:15], v[14:15], 0, s[18:19]
	s_addc_u32 s39, s39, s19
	v_lshl_add_u64 v[16:17], v[16:17], 0, s[40:41]
	v_add_u32_e32 v22, 0x200, v22
	s_and_b64 vcc, exec, s[2:3]
	s_mov_b32 s20, s23
	s_barrier
	s_cbranch_vccnz .LBB7_106
.LBB7_58:                               ; =>This Loop Header: Depth=1
                                        ;     Child Loop BB7_63 Depth 2
                                        ;     Child Loop BB7_76 Depth 2
                                        ;       Child Loop BB7_79 Depth 3
	v_add_u32_e32 v23, s20, v0
	v_cmp_le_i32_e32 vcc, s21, v23
	v_cmp_gt_i32_e64 s[0:1], s21, v23
	s_and_saveexec_b64 s[2:3], s[0:1]
	s_cbranch_execz .LBB7_60
; %bb.59:                               ;   in Loop: Header=BB7_58 Depth=1
	v_mad_u64_u32 v[2:3], s[46:47], s16, v23, 0
	v_mov_b32_e32 v4, v3
	v_mad_u64_u32 v[4:5], s[46:47], s17, v23, v[4:5]
	v_mov_b32_e32 v3, v4
	v_lshl_add_u64 v[2:3], v[2:3], 4, s[10:11]
	global_load_dwordx4 v[2:5], v[2:3], off
	s_waitcnt vmcnt(0)
	ds_write2_b64 v1, v[2:3], v[4:5] offset1:1
.LBB7_60:                               ;   in Loop: Header=BB7_58 Depth=1
	s_or_b64 exec, exec, s[2:3]
	v_subrev_u32_e32 v24, s22, v23
	s_mov_b32 s23, 0
	s_movk_i32 s33, 0x2000
	v_mov_b64_e32 v[18:19], s[38:39]
	s_xor_b64 s[46:47], vcc, -1
	v_mov_b64_e32 v[20:21], v[14:15]
	s_waitcnt lgkmcnt(0)
	s_barrier
	s_branch .LBB7_63
.LBB7_61:                               ;   in Loop: Header=BB7_63 Depth=2
	s_or_b64 exec, exec, s[2:3]
	s_add_i32 s23, s23, 1
	s_add_i32 s33, s33, 16
	s_cmpk_eq_i32 s23, 0x200
	v_lshl_add_u64 v[20:21], v[20:21], 0, 16
	v_lshl_add_u64 v[18:19], v[18:19], 0, s[14:15]
	s_cselect_b64 s[2:3], -1, 0
.LBB7_62:                               ;   in Loop: Header=BB7_63 Depth=2
	s_and_b64 vcc, exec, s[2:3]
	s_cbranch_vccnz .LBB7_72
.LBB7_63:                               ;   Parent Loop BB7_58 Depth=1
                                        ; =>  This Inner Loop Header: Depth=2
	s_add_i32 s50, s20, s23
	s_cmp_ge_i32 s50, s21
	s_mov_b64 s[2:3], -1
	s_cbranch_scc1 .LBB7_62
; %bb.64:                               ;   in Loop: Header=BB7_63 Depth=2
	v_cmp_eq_u32_e32 vcc, s23, v0
	s_and_b64 s[48:49], s[44:45], vcc
	s_and_saveexec_b64 s[2:3], s[48:49]
	s_cbranch_execz .LBB7_70
; %bb.65:                               ;   in Loop: Header=BB7_63 Depth=2
	global_load_dwordx4 v[2:5], v[18:19], off offset:-8
	ds_read_b128 v[6:9], v1
	s_mov_b64 s[48:49], -1
                                        ; implicit-def: $vgpr10_vgpr11
	s_waitcnt vmcnt(0)
	v_cmp_ngt_f64_e64 s[52:53], |v[2:3]|, |v[4:5]|
	s_and_b64 vcc, exec, s[52:53]
	s_cbranch_vccz .LBB7_67
; %bb.66:                               ;   in Loop: Header=BB7_63 Depth=2
	v_div_scale_f64 v[10:11], s[48:49], v[4:5], v[4:5], v[2:3]
	v_rcp_f64_e32 v[12:13], v[10:11]
	v_div_scale_f64 v[26:27], vcc, v[2:3], v[4:5], v[2:3]
	v_fma_f64 v[28:29], -v[10:11], v[12:13], 1.0
	v_fmac_f64_e32 v[12:13], v[12:13], v[28:29]
	v_fma_f64 v[28:29], -v[10:11], v[12:13], 1.0
	v_fmac_f64_e32 v[12:13], v[12:13], v[28:29]
	v_mul_f64 v[28:29], v[26:27], v[12:13]
	v_fma_f64 v[10:11], -v[10:11], v[28:29], v[26:27]
	v_div_fmas_f64 v[10:11], v[10:11], v[12:13], v[28:29]
	v_div_fixup_f64 v[12:13], v[10:11], v[4:5], v[2:3]
	v_fma_f64 v[10:11], v[2:3], v[12:13], v[4:5]
	v_div_scale_f64 v[26:27], s[48:49], v[10:11], v[10:11], 1.0
	v_rcp_f64_e32 v[28:29], v[26:27]
	s_mov_b64 s[48:49], 0
	v_fma_f64 v[30:31], -v[26:27], v[28:29], 1.0
	v_fmac_f64_e32 v[28:29], v[28:29], v[30:31]
	v_fma_f64 v[30:31], -v[26:27], v[28:29], 1.0
	v_fmac_f64_e32 v[28:29], v[28:29], v[30:31]
	v_div_scale_f64 v[30:31], vcc, 1.0, v[10:11], 1.0
	v_mul_f64 v[32:33], v[30:31], v[28:29]
	v_fma_f64 v[26:27], -v[26:27], v[32:33], v[30:31]
	s_nop 1
	v_div_fmas_f64 v[26:27], v[26:27], v[28:29], v[32:33]
	v_div_fixup_f64 v[26:27], v[26:27], v[10:11], 1.0
	s_waitcnt lgkmcnt(0)
	v_fma_f64 v[10:11], v[12:13], v[6:7], v[8:9]
	v_fma_f64 v[12:13], v[12:13], v[8:9], -v[6:7]
	v_mul_f64 v[10:11], v[10:11], v[26:27]
	v_mul_f64 v[12:13], v[26:27], v[12:13]
.LBB7_67:                               ;   in Loop: Header=BB7_63 Depth=2
	s_andn2_b64 vcc, exec, s[48:49]
	s_cbranch_vccnz .LBB7_69
; %bb.68:                               ;   in Loop: Header=BB7_63 Depth=2
	v_div_scale_f64 v[10:11], s[48:49], v[2:3], v[2:3], v[4:5]
	v_rcp_f64_e32 v[12:13], v[10:11]
	v_div_scale_f64 v[26:27], vcc, v[4:5], v[2:3], v[4:5]
	v_fma_f64 v[28:29], -v[10:11], v[12:13], 1.0
	v_fmac_f64_e32 v[12:13], v[12:13], v[28:29]
	v_fma_f64 v[28:29], -v[10:11], v[12:13], 1.0
	v_fmac_f64_e32 v[12:13], v[12:13], v[28:29]
	v_mul_f64 v[28:29], v[26:27], v[12:13]
	v_fma_f64 v[10:11], -v[10:11], v[28:29], v[26:27]
	v_div_fmas_f64 v[10:11], v[10:11], v[12:13], v[28:29]
	v_div_fixup_f64 v[12:13], v[10:11], v[2:3], v[4:5]
	v_fmac_f64_e32 v[2:3], v[4:5], v[12:13]
	v_div_scale_f64 v[4:5], s[48:49], v[2:3], v[2:3], 1.0
	v_rcp_f64_e32 v[10:11], v[4:5]
	s_nop 0
	v_fma_f64 v[26:27], -v[4:5], v[10:11], 1.0
	v_fmac_f64_e32 v[10:11], v[10:11], v[26:27]
	v_fma_f64 v[26:27], -v[4:5], v[10:11], 1.0
	v_fmac_f64_e32 v[10:11], v[10:11], v[26:27]
	v_div_scale_f64 v[26:27], vcc, 1.0, v[2:3], 1.0
	v_mul_f64 v[28:29], v[26:27], v[10:11]
	v_fma_f64 v[4:5], -v[4:5], v[28:29], v[26:27]
	s_nop 1
	v_div_fmas_f64 v[4:5], v[4:5], v[10:11], v[28:29]
	v_div_fixup_f64 v[2:3], v[4:5], v[2:3], 1.0
	s_waitcnt lgkmcnt(0)
	v_fma_f64 v[4:5], v[12:13], v[8:9], v[6:7]
	v_mul_f64 v[10:11], v[2:3], v[4:5]
	v_fma_f64 v[4:5], -v[12:13], v[6:7], v[8:9]
	v_mul_f64 v[12:13], v[4:5], v[2:3]
.LBB7_69:                               ;   in Loop: Header=BB7_63 Depth=2
	ds_write_b128 v1, v[10:13]
.LBB7_70:                               ;   in Loop: Header=BB7_63 Depth=2
	s_or_b64 exec, exec, s[2:3]
	v_cmp_lt_u32_e32 vcc, s23, v0
	v_cmp_ge_i32_e64 s[2:3], s50, v24
	s_and_b64 s[48:49], s[46:47], vcc
	s_and_b64 s[48:49], s[48:49], s[2:3]
	s_waitcnt lgkmcnt(0)
	s_barrier
	s_and_saveexec_b64 s[2:3], s[48:49]
	s_cbranch_execz .LBB7_61
; %bb.71:                               ;   in Loop: Header=BB7_63 Depth=2
	global_load_dwordx4 v[2:5], v[20:21], off offset:-8
	v_mov_b32_e32 v6, s33
	ds_read_b128 v[6:9], v6
	ds_read_b128 v[10:13], v1
	s_waitcnt vmcnt(0) lgkmcnt(1)
	v_mul_f64 v[26:27], v[4:5], v[8:9]
	v_mul_f64 v[8:9], v[2:3], v[8:9]
	v_fma_f64 v[2:3], v[2:3], v[6:7], -v[26:27]
	v_fmac_f64_e32 v[8:9], v[4:5], v[6:7]
	s_waitcnt lgkmcnt(0)
	v_add_f64 v[2:3], v[10:11], -v[2:3]
	v_add_f64 v[4:5], v[12:13], -v[8:9]
	ds_write_b128 v1, v[2:5]
	s_branch .LBB7_61
.LBB7_72:                               ;   in Loop: Header=BB7_58 Depth=1
	s_add_i32 s23, s20, 0x200
	s_cmp_ge_i32 s23, s21
	s_cselect_b64 s[2:3], -1, 0
	s_and_b64 vcc, exec, s[2:3]
	s_waitcnt lgkmcnt(0)
	s_barrier
	s_cbranch_vccnz .LBB7_104
; %bb.73:                               ;   in Loop: Header=BB7_58 Depth=1
	v_mad_i64_i32 v[2:3], s[46:47], v22, -16, v[16:17]
	s_mov_b64 s[46:47], 0
	v_mov_b32_e32 v10, v0
	s_mov_b32 s33, s23
                                        ; implicit-def: $sgpr48_sgpr49
	s_branch .LBB7_76
.LBB7_74:                               ;   in Loop: Header=BB7_76 Depth=2
	v_mad_u64_u32 v[8:9], s[52:53], s16, v11, 0
	v_mov_b32_e32 v12, v9
	v_mad_u64_u32 v[12:13], s[52:53], s17, v11, v[12:13]
	v_mov_b32_e32 v9, v12
	v_lshl_add_u64 v[12:13], v[8:9], 4, s[10:11]
	global_load_dwordx4 v[18:21], v[12:13], off
	s_addk_i32 s33, 0x200
	s_cmp_ge_i32 s33, s21
	s_cselect_b64 s[52:53], -1, 0
	s_andn2_b64 s[48:49], s[48:49], exec
	s_and_b64 s[52:53], s[52:53], exec
	v_lshl_add_u64 v[2:3], v[2:3], 0, s[42:43]
	s_or_b64 s[48:49], s[48:49], s[52:53]
	s_waitcnt vmcnt(0)
	v_add_f64 v[6:7], v[18:19], -v[6:7]
	v_add_f64 v[8:9], v[20:21], -v[4:5]
	global_store_dwordx4 v[12:13], v[6:9], off
.LBB7_75:                               ;   in Loop: Header=BB7_76 Depth=2
	s_or_b64 exec, exec, s[50:51]
	s_and_b64 s[50:51], exec, s[48:49]
	s_or_b64 s[46:47], s[50:51], s[46:47]
	s_andn2_b64 exec, exec, s[46:47]
	s_cbranch_execz .LBB7_103
.LBB7_76:                               ;   Parent Loop BB7_58 Depth=1
                                        ; =>  This Loop Header: Depth=2
                                        ;       Child Loop BB7_79 Depth 3
	v_add_u32_e32 v11, s33, v0
	v_cmp_gt_i32_e32 vcc, s21, v11
	s_or_b64 s[48:49], s[48:49], exec
	s_and_saveexec_b64 s[50:51], vcc
	s_cbranch_execz .LBB7_75
; %bb.77:                               ;   in Loop: Header=BB7_76 Depth=2
	v_subrev_u32_e32 v12, s22, v11
	v_add_u32_e32 v13, 0x1fd, v10
	v_add_u32_e32 v18, 0x1fe, v10
	;; [unrolled: 1-line block ×4, first 2 shown]
	v_mov_b64_e32 v[4:5], 0
	s_mov_b32 s56, 0
	s_movk_i32 s57, 0x2000
	v_mov_b64_e32 v[8:9], v[2:3]
	v_mov_b64_e32 v[6:7], 0
	s_branch .LBB7_79
.LBB7_78:                               ;   in Loop: Header=BB7_79 Depth=3
	s_or_b64 exec, exec, s[52:53]
	s_add_i32 s56, s56, 4
	s_add_i32 s57, s57, 64
	s_cmpk_eq_i32 s56, 0x200
	v_lshl_add_u64 v[8:9], v[8:9], 0, 64
	s_cbranch_scc1 .LBB7_74
.LBB7_79:                               ;   Parent Loop BB7_58 Depth=1
                                        ;     Parent Loop BB7_76 Depth=2
                                        ; =>    This Inner Loop Header: Depth=3
	v_cmp_ne_u32_e32 vcc, s56, v10
	s_add_i32 s58, s20, s56
	s_or_b64 s[52:53], s[44:45], vcc
	s_and_saveexec_b64 s[54:55], s[52:53]
	s_xor_b64 s[52:53], exec, s[54:55]
	s_cbranch_execz .LBB7_83
; %bb.80:                               ;   in Loop: Header=BB7_79 Depth=3
	s_cmp_lt_i32 s58, s21
	s_cselect_b64 s[54:55], -1, 0
	v_cmp_ge_i32_e32 vcc, s58, v12
	s_and_b64 s[60:61], s[54:55], vcc
	s_and_saveexec_b64 s[54:55], s[60:61]
	s_cbranch_execz .LBB7_82
; %bb.81:                               ;   in Loop: Header=BB7_79 Depth=3
	global_load_dwordx4 v[24:27], v[8:9], off offset:-32
	v_mov_b32_e32 v20, s57
	ds_read_b128 v[28:31], v20
	s_waitcnt vmcnt(0) lgkmcnt(0)
	v_mul_f64 v[20:21], v[26:27], v[30:31]
	v_mul_f64 v[30:31], v[24:25], v[30:31]
	v_fma_f64 v[20:21], v[24:25], v[28:29], -v[20:21]
	v_fmac_f64_e32 v[30:31], v[26:27], v[28:29]
	v_add_f64 v[6:7], v[6:7], v[20:21]
	v_add_f64 v[4:5], v[4:5], v[30:31]
.LBB7_82:                               ;   in Loop: Header=BB7_79 Depth=3
	s_or_b64 exec, exec, s[54:55]
.LBB7_83:                               ;   in Loop: Header=BB7_79 Depth=3
	s_andn2_saveexec_b64 s[52:53], s[52:53]
	s_cbranch_execz .LBB7_85
; %bb.84:                               ;   in Loop: Header=BB7_79 Depth=3
	v_mov_b32_e32 v20, s57
	ds_read_b128 v[24:27], v20
	s_waitcnt lgkmcnt(0)
	v_add_f64 v[6:7], v[6:7], v[24:25]
	v_add_f64 v[4:5], v[4:5], v[26:27]
.LBB7_85:                               ;   in Loop: Header=BB7_79 Depth=3
	s_or_b64 exec, exec, s[52:53]
	v_cmp_ne_u32_e32 vcc, s56, v19
	s_or_b64 s[52:53], s[44:45], vcc
	s_and_saveexec_b64 s[54:55], s[52:53]
	s_xor_b64 s[52:53], exec, s[54:55]
	s_cbranch_execz .LBB7_89
; %bb.86:                               ;   in Loop: Header=BB7_79 Depth=3
	s_add_i32 s59, s58, 1
	s_cmp_lt_i32 s59, s21
	s_cselect_b64 s[54:55], -1, 0
	v_cmp_ge_i32_e32 vcc, s59, v12
	s_and_b64 s[60:61], s[54:55], vcc
	s_and_saveexec_b64 s[54:55], s[60:61]
	s_cbranch_execz .LBB7_88
; %bb.87:                               ;   in Loop: Header=BB7_79 Depth=3
	global_load_dwordx4 v[24:27], v[8:9], off offset:-16
	v_mov_b32_e32 v20, s57
	ds_read_b128 v[28:31], v20 offset:16
	s_waitcnt vmcnt(0) lgkmcnt(0)
	v_mul_f64 v[20:21], v[26:27], v[30:31]
	v_mul_f64 v[30:31], v[24:25], v[30:31]
	v_fma_f64 v[20:21], v[24:25], v[28:29], -v[20:21]
	v_fmac_f64_e32 v[30:31], v[26:27], v[28:29]
	v_add_f64 v[6:7], v[6:7], v[20:21]
	v_add_f64 v[4:5], v[4:5], v[30:31]
.LBB7_88:                               ;   in Loop: Header=BB7_79 Depth=3
	s_or_b64 exec, exec, s[54:55]
.LBB7_89:                               ;   in Loop: Header=BB7_79 Depth=3
	s_andn2_saveexec_b64 s[52:53], s[52:53]
	s_cbranch_execz .LBB7_91
; %bb.90:                               ;   in Loop: Header=BB7_79 Depth=3
	v_mov_b32_e32 v20, s57
	ds_read_b128 v[24:27], v20 offset:16
	s_waitcnt lgkmcnt(0)
	v_add_f64 v[6:7], v[6:7], v[24:25]
	v_add_f64 v[4:5], v[4:5], v[26:27]
.LBB7_91:                               ;   in Loop: Header=BB7_79 Depth=3
	s_or_b64 exec, exec, s[52:53]
	v_cmp_ne_u32_e32 vcc, s56, v18
	s_or_b64 s[52:53], s[44:45], vcc
	s_and_saveexec_b64 s[54:55], s[52:53]
	s_xor_b64 s[52:53], exec, s[54:55]
	s_cbranch_execz .LBB7_95
; %bb.92:                               ;   in Loop: Header=BB7_79 Depth=3
	s_add_i32 s59, s58, 2
	s_cmp_lt_i32 s59, s21
	s_cselect_b64 s[54:55], -1, 0
	v_cmp_ge_i32_e32 vcc, s59, v12
	s_and_b64 s[60:61], s[54:55], vcc
	s_and_saveexec_b64 s[54:55], s[60:61]
	s_cbranch_execz .LBB7_94
; %bb.93:                               ;   in Loop: Header=BB7_79 Depth=3
	global_load_dwordx4 v[24:27], v[8:9], off
	v_mov_b32_e32 v20, s57
	ds_read_b128 v[28:31], v20 offset:32
	s_waitcnt vmcnt(0) lgkmcnt(0)
	v_mul_f64 v[20:21], v[26:27], v[30:31]
	v_mul_f64 v[30:31], v[24:25], v[30:31]
	v_fma_f64 v[20:21], v[24:25], v[28:29], -v[20:21]
	v_fmac_f64_e32 v[30:31], v[26:27], v[28:29]
	v_add_f64 v[6:7], v[6:7], v[20:21]
	v_add_f64 v[4:5], v[4:5], v[30:31]
.LBB7_94:                               ;   in Loop: Header=BB7_79 Depth=3
	s_or_b64 exec, exec, s[54:55]
.LBB7_95:                               ;   in Loop: Header=BB7_79 Depth=3
	s_andn2_saveexec_b64 s[52:53], s[52:53]
	s_cbranch_execz .LBB7_97
; %bb.96:                               ;   in Loop: Header=BB7_79 Depth=3
	v_mov_b32_e32 v20, s57
	ds_read_b128 v[24:27], v20 offset:32
	s_waitcnt lgkmcnt(0)
	v_add_f64 v[6:7], v[6:7], v[24:25]
	v_add_f64 v[4:5], v[4:5], v[26:27]
.LBB7_97:                               ;   in Loop: Header=BB7_79 Depth=3
	s_or_b64 exec, exec, s[52:53]
	v_cmp_ne_u32_e32 vcc, s56, v13
	s_or_b64 s[52:53], s[44:45], vcc
	s_and_saveexec_b64 s[54:55], s[52:53]
	s_xor_b64 s[52:53], exec, s[54:55]
	s_cbranch_execz .LBB7_101
; %bb.98:                               ;   in Loop: Header=BB7_79 Depth=3
	s_add_i32 s58, s58, 3
	s_cmp_lt_i32 s58, s21
	s_cselect_b64 s[54:55], -1, 0
	v_cmp_ge_i32_e32 vcc, s58, v12
	s_and_b64 s[58:59], s[54:55], vcc
	s_and_saveexec_b64 s[54:55], s[58:59]
	s_cbranch_execz .LBB7_100
; %bb.99:                               ;   in Loop: Header=BB7_79 Depth=3
	global_load_dwordx4 v[24:27], v[8:9], off offset:16
	v_mov_b32_e32 v20, s57
	ds_read_b128 v[28:31], v20 offset:48
	s_waitcnt vmcnt(0) lgkmcnt(0)
	v_mul_f64 v[20:21], v[26:27], v[30:31]
	v_mul_f64 v[30:31], v[24:25], v[30:31]
	v_fma_f64 v[20:21], v[24:25], v[28:29], -v[20:21]
	v_fmac_f64_e32 v[30:31], v[26:27], v[28:29]
	v_add_f64 v[6:7], v[6:7], v[20:21]
	v_add_f64 v[4:5], v[4:5], v[30:31]
.LBB7_100:                              ;   in Loop: Header=BB7_79 Depth=3
	s_or_b64 exec, exec, s[54:55]
.LBB7_101:                              ;   in Loop: Header=BB7_79 Depth=3
	s_andn2_saveexec_b64 s[52:53], s[52:53]
	s_cbranch_execz .LBB7_78
; %bb.102:                              ;   in Loop: Header=BB7_79 Depth=3
	v_mov_b32_e32 v20, s57
	ds_read_b128 v[24:27], v20 offset:48
	s_waitcnt lgkmcnt(0)
	v_add_f64 v[6:7], v[6:7], v[24:25]
	v_add_f64 v[4:5], v[4:5], v[26:27]
	s_branch .LBB7_78
.LBB7_103:                              ;   in Loop: Header=BB7_58 Depth=1
	s_or_b64 exec, exec, s[46:47]
.LBB7_104:                              ;   in Loop: Header=BB7_58 Depth=1
	s_and_saveexec_b64 s[46:47], s[0:1]
	s_cbranch_execz .LBB7_57
; %bb.105:                              ;   in Loop: Header=BB7_58 Depth=1
	v_mad_u64_u32 v[6:7], s[0:1], s16, v23, 0
	ds_read2_b64 v[2:5], v1 offset1:1
	v_mov_b32_e32 v8, v7
	v_mad_u64_u32 v[8:9], s[0:1], s17, v23, v[8:9]
	v_mov_b32_e32 v7, v8
	v_lshl_add_u64 v[6:7], v[6:7], 4, s[10:11]
	s_waitcnt lgkmcnt(0)
	global_store_dwordx4 v[6:7], v[2:5], off
	s_branch .LBB7_57
.LBB7_106:
	s_mov_b64 s[0:1], 0
.LBB7_107:
	s_andn2_b64 vcc, exec, s[0:1]
	s_cbranch_vccnz .LBB7_189
; %bb.108:
	s_mov_b64 s[0:1], -1
	s_and_b64 vcc, exec, s[36:37]
	s_cbranch_vccz .LBB7_149
; %bb.109:
	s_andn2_b64 vcc, exec, s[12:13]
	s_cbranch_vccnz .LBB7_148
; %bb.110:
	s_lshl_b64 s[14:15], s[8:9], 13
	s_lshl_b64 s[18:19], s[8:9], 4
	s_add_u32 s2, s28, s30
	s_addc_u32 s3, s29, s31
	s_add_u32 s0, s4, s2
	s_addc_u32 s1, s5, s3
	;; [unrolled: 2-line block ×3, first 2 shown]
	s_lshl_b64 s[0:1], s[8:9], 5
	s_add_u32 s2, s2, s18
	s_addc_u32 s3, s3, s19
	s_add_u32 s2, s4, s2
	s_addc_u32 s3, s5, s3
	s_add_u32 s38, s2, -8
	s_addc_u32 s39, s3, -1
	s_add_u32 s20, s0, 0xffffffe0
	v_lshlrev_b32_e32 v1, 4, v0
	v_or_b32_e32 v14, 0x200, v0
	s_addc_u32 s23, s1, -1
	s_mov_b32 s33, 0
	s_mov_b64 s[40:41], 0
	s_xor_b64 s[42:43], s[24:25], -1
	v_mov_b32_e32 v17, 0
	s_branch .LBB7_112
.LBB7_111:                              ;   in Loop: Header=BB7_112 Depth=1
	s_or_b64 exec, exec, s[44:45]
	s_add_u32 s34, s34, s14
	s_addc_u32 s35, s35, s15
	s_add_u32 s36, s36, s14
	s_addc_u32 s37, s37, s15
	s_add_u32 s40, s40, 0xfffffe00
	s_addc_u32 s41, s41, -1
	s_add_u32 s38, s38, s14
	v_add_u32_e32 v14, 0x200, v14
	s_addc_u32 s39, s39, s15
	s_and_b64 vcc, exec, s[2:3]
	s_mov_b32 s33, s62
	s_barrier
	s_cbranch_vccnz .LBB7_148
.LBB7_112:                              ; =>This Loop Header: Depth=1
                                        ;     Child Loop BB7_116 Depth 2
                                        ;     Child Loop BB7_130 Depth 2
                                        ;       Child Loop BB7_133 Depth 3
	v_add_u32_e32 v18, s33, v0
	v_cmp_le_i32_e32 vcc, s21, v18
	v_cmp_gt_i32_e64 s[0:1], s21, v18
	s_and_saveexec_b64 s[2:3], s[0:1]
	s_cbranch_execz .LBB7_114
; %bb.113:                              ;   in Loop: Header=BB7_112 Depth=1
	v_mad_u64_u32 v[2:3], s[44:45], s16, v18, 0
	v_mov_b32_e32 v4, v3
	v_mad_u64_u32 v[4:5], s[44:45], s17, v18, v[4:5]
	v_mov_b32_e32 v3, v4
	v_lshl_add_u64 v[2:3], v[2:3], 4, s[10:11]
	global_load_dwordx4 v[2:5], v[2:3], off
	s_waitcnt vmcnt(0)
	ds_write2_b64 v1, v[2:3], v[4:5] offset1:1
.LBB7_114:                              ;   in Loop: Header=BB7_112 Depth=1
	s_or_b64 exec, exec, s[2:3]
	v_subrev_u32_e32 v15, s22, v18
	s_mov_b32 s52, 0
	s_xor_b64 s[44:45], vcc, -1
	s_mov_b64 s[46:47], s[36:37]
	s_mov_b64 s[48:49], s[34:35]
	v_mov_b32_e32 v16, v0
	s_mov_b32 s53, 0
	s_waitcnt lgkmcnt(0)
	s_barrier
	s_branch .LBB7_116
.LBB7_115:                              ;   in Loop: Header=BB7_116 Depth=2
                                        ; implicit-def: $sgpr53
                                        ; implicit-def: $sgpr52
                                        ; implicit-def: $sgpr48_sgpr49
                                        ; implicit-def: $sgpr46_sgpr47
	s_cbranch_execnz .LBB7_126
.LBB7_116:                              ;   Parent Loop BB7_112 Depth=1
                                        ; =>  This Inner Loop Header: Depth=2
	s_add_i32 s54, s33, s53
	s_cmp_ge_i32 s54, s21
	s_cbranch_scc1 .LBB7_115
; %bb.117:                              ;   in Loop: Header=BB7_116 Depth=2
	v_cmp_eq_u32_e32 vcc, s53, v0
	s_and_b64 s[50:51], s[42:43], vcc
	s_and_saveexec_b64 s[2:3], s[50:51]
	s_cbranch_execz .LBB7_123
; %bb.118:                              ;   in Loop: Header=BB7_116 Depth=2
	global_load_dwordx4 v[2:5], v17, s[48:49]
	ds_read_b128 v[6:9], v1
	s_mov_b64 s[50:51], -1
                                        ; implicit-def: $vgpr10_vgpr11
	s_waitcnt vmcnt(0)
	v_cmp_ngt_f64_e64 s[56:57], |v[2:3]|, |v[4:5]|
	s_and_b64 vcc, exec, s[56:57]
	s_cbranch_vccz .LBB7_120
; %bb.119:                              ;   in Loop: Header=BB7_116 Depth=2
	v_div_scale_f64 v[10:11], s[50:51], v[4:5], v[4:5], v[2:3]
	v_rcp_f64_e32 v[12:13], v[10:11]
	v_div_scale_f64 v[20:21], vcc, v[2:3], v[4:5], v[2:3]
	v_fma_f64 v[22:23], -v[10:11], v[12:13], 1.0
	v_fmac_f64_e32 v[12:13], v[12:13], v[22:23]
	v_fma_f64 v[22:23], -v[10:11], v[12:13], 1.0
	v_fmac_f64_e32 v[12:13], v[12:13], v[22:23]
	v_mul_f64 v[22:23], v[20:21], v[12:13]
	v_fma_f64 v[10:11], -v[10:11], v[22:23], v[20:21]
	v_div_fmas_f64 v[10:11], v[10:11], v[12:13], v[22:23]
	v_div_fixup_f64 v[12:13], v[10:11], v[4:5], v[2:3]
	v_fma_f64 v[10:11], v[2:3], v[12:13], v[4:5]
	v_div_scale_f64 v[20:21], s[50:51], v[10:11], v[10:11], 1.0
	v_rcp_f64_e32 v[22:23], v[20:21]
	s_mov_b64 s[50:51], 0
	v_fma_f64 v[24:25], -v[20:21], v[22:23], 1.0
	v_fmac_f64_e32 v[22:23], v[22:23], v[24:25]
	v_fma_f64 v[24:25], -v[20:21], v[22:23], 1.0
	v_fmac_f64_e32 v[22:23], v[22:23], v[24:25]
	v_div_scale_f64 v[24:25], vcc, 1.0, v[10:11], 1.0
	v_mul_f64 v[26:27], v[24:25], v[22:23]
	v_fma_f64 v[20:21], -v[20:21], v[26:27], v[24:25]
	s_nop 1
	v_div_fmas_f64 v[20:21], v[20:21], v[22:23], v[26:27]
	v_div_fixup_f64 v[20:21], v[20:21], v[10:11], 1.0
	s_waitcnt lgkmcnt(0)
	v_fma_f64 v[10:11], v[12:13], v[6:7], v[8:9]
	v_fma_f64 v[12:13], v[12:13], v[8:9], -v[6:7]
	v_mul_f64 v[10:11], v[10:11], v[20:21]
	v_mul_f64 v[12:13], v[20:21], v[12:13]
.LBB7_120:                              ;   in Loop: Header=BB7_116 Depth=2
	s_andn2_b64 vcc, exec, s[50:51]
	s_cbranch_vccnz .LBB7_122
; %bb.121:                              ;   in Loop: Header=BB7_116 Depth=2
	v_div_scale_f64 v[10:11], s[50:51], v[2:3], v[2:3], v[4:5]
	v_rcp_f64_e32 v[12:13], v[10:11]
	v_div_scale_f64 v[20:21], vcc, v[4:5], v[2:3], v[4:5]
	v_fma_f64 v[22:23], -v[10:11], v[12:13], 1.0
	v_fmac_f64_e32 v[12:13], v[12:13], v[22:23]
	v_fma_f64 v[22:23], -v[10:11], v[12:13], 1.0
	v_fmac_f64_e32 v[12:13], v[12:13], v[22:23]
	v_mul_f64 v[22:23], v[20:21], v[12:13]
	v_fma_f64 v[10:11], -v[10:11], v[22:23], v[20:21]
	v_div_fmas_f64 v[10:11], v[10:11], v[12:13], v[22:23]
	v_div_fixup_f64 v[12:13], v[10:11], v[2:3], v[4:5]
	v_fmac_f64_e32 v[2:3], v[4:5], v[12:13]
	v_div_scale_f64 v[4:5], s[50:51], v[2:3], v[2:3], 1.0
	v_rcp_f64_e32 v[10:11], v[4:5]
	s_nop 0
	v_fma_f64 v[20:21], -v[4:5], v[10:11], 1.0
	v_fmac_f64_e32 v[10:11], v[10:11], v[20:21]
	v_fma_f64 v[20:21], -v[4:5], v[10:11], 1.0
	v_fmac_f64_e32 v[10:11], v[10:11], v[20:21]
	v_div_scale_f64 v[20:21], vcc, 1.0, v[2:3], 1.0
	v_mul_f64 v[22:23], v[20:21], v[10:11]
	v_fma_f64 v[4:5], -v[4:5], v[22:23], v[20:21]
	s_nop 1
	v_div_fmas_f64 v[4:5], v[4:5], v[10:11], v[22:23]
	v_div_fixup_f64 v[2:3], v[4:5], v[2:3], 1.0
	s_waitcnt lgkmcnt(0)
	v_fma_f64 v[4:5], v[12:13], v[8:9], v[6:7]
	v_mul_f64 v[10:11], v[2:3], v[4:5]
	v_fma_f64 v[4:5], -v[12:13], v[6:7], v[8:9]
	v_mul_f64 v[12:13], v[4:5], v[2:3]
.LBB7_122:                              ;   in Loop: Header=BB7_116 Depth=2
	ds_write_b128 v1, v[10:13]
.LBB7_123:                              ;   in Loop: Header=BB7_116 Depth=2
	s_or_b64 exec, exec, s[2:3]
	v_cmp_lt_u32_e32 vcc, s53, v0
	v_cmp_ge_i32_e64 s[2:3], s54, v15
	s_and_b64 s[50:51], s[44:45], vcc
	s_and_b64 s[50:51], s[50:51], s[2:3]
	s_waitcnt lgkmcnt(0)
	s_barrier
	s_and_saveexec_b64 s[2:3], s[50:51]
	s_cbranch_execz .LBB7_125
; %bb.124:                              ;   in Loop: Header=BB7_116 Depth=2
	v_lshl_add_u64 v[2:3], v[16:17], 4, s[46:47]
	global_load_dwordx4 v[2:5], v[2:3], off offset:-8
	v_mov_b32_e32 v6, s52
	ds_read_b128 v[6:9], v6
	ds_read_b128 v[10:13], v1
	s_waitcnt vmcnt(0) lgkmcnt(1)
	v_mul_f64 v[20:21], v[4:5], v[8:9]
	v_mul_f64 v[8:9], v[2:3], v[8:9]
	v_fma_f64 v[2:3], v[2:3], v[6:7], -v[20:21]
	v_fmac_f64_e32 v[8:9], v[4:5], v[6:7]
	s_waitcnt lgkmcnt(0)
	v_add_f64 v[2:3], v[10:11], -v[2:3]
	v_add_f64 v[4:5], v[12:13], -v[8:9]
	ds_write_b128 v1, v[2:5]
.LBB7_125:                              ;   in Loop: Header=BB7_116 Depth=2
	s_or_b64 exec, exec, s[2:3]
	s_add_i32 s53, s53, 1
	s_add_i32 s52, s52, 16
	s_add_u32 s48, s48, s18
	s_addc_u32 s49, s49, s19
	s_add_u32 s46, s46, s18
	s_addc_u32 s47, s47, s19
	s_cmpk_eq_i32 s53, 0x200
	v_add_u32_e32 v16, -1, v16
	s_cselect_b64 s[2:3], -1, 0
	s_and_b64 vcc, exec, s[2:3]
	s_cbranch_vccz .LBB7_116
.LBB7_126:                              ;   in Loop: Header=BB7_112 Depth=1
	s_add_i32 s62, s33, 0x200
	s_cmp_ge_i32 s62, s21
	s_cselect_b64 s[2:3], -1, 0
	s_and_b64 vcc, exec, s[2:3]
	s_waitcnt lgkmcnt(0)
	s_barrier
	s_cbranch_vccnz .LBB7_146
; %bb.127:                              ;   in Loop: Header=BB7_112 Depth=1
	v_ashrrev_i32_e32 v15, 31, v14
	v_lshl_add_u64 v[2:3], s[40:41], 0, v[14:15]
	v_lshlrev_b64 v[2:3], 4, v[2:3]
	s_mov_b64 s[44:45], 0
	s_mov_b64 s[46:47], s[36:37]
	v_mov_b32_e32 v8, v0
	s_mov_b64 s[48:49], s[38:39]
	s_mov_b32 s63, s62
                                        ; implicit-def: $sgpr50_sgpr51
	s_branch .LBB7_130
.LBB7_128:                              ;   in Loop: Header=BB7_130 Depth=2
	v_mad_u64_u32 v[10:11], s[54:55], s16, v9, 0
	v_mov_b32_e32 v12, v11
	v_mad_u64_u32 v[12:13], s[54:55], s17, v9, v[12:13]
	v_mov_b32_e32 v11, v12
	v_lshl_add_u64 v[20:21], v[10:11], 4, s[10:11]
	global_load_dwordx4 v[10:13], v[20:21], off
	s_addk_i32 s63, 0x200
	s_add_u32 s48, s48, 0x2000
	s_addc_u32 s49, s49, 0
	s_add_u32 s46, s46, 0x2000
	s_addc_u32 s47, s47, 0
	s_cmp_ge_i32 s63, s21
	s_cselect_b64 s[54:55], -1, 0
	s_andn2_b64 s[50:51], s[50:51], exec
	s_and_b64 s[54:55], s[54:55], exec
	s_or_b64 s[50:51], s[50:51], s[54:55]
	s_waitcnt vmcnt(0)
	v_add_f64 v[10:11], v[10:11], -v[6:7]
	v_add_f64 v[12:13], v[12:13], -v[4:5]
	global_store_dwordx4 v[20:21], v[10:13], off
.LBB7_129:                              ;   in Loop: Header=BB7_130 Depth=2
	s_or_b64 exec, exec, s[52:53]
	s_and_b64 s[52:53], exec, s[50:51]
	s_or_b64 s[44:45], s[52:53], s[44:45]
	s_andn2_b64 exec, exec, s[44:45]
	s_cbranch_execz .LBB7_145
.LBB7_130:                              ;   Parent Loop BB7_112 Depth=1
                                        ; =>  This Loop Header: Depth=2
                                        ;       Child Loop BB7_133 Depth 3
	v_add_u32_e32 v9, s63, v0
	v_cmp_gt_i32_e32 vcc, s21, v9
	s_or_b64 s[50:51], s[50:51], exec
	s_and_saveexec_b64 s[52:53], vcc
	s_cbranch_execz .LBB7_129
; %bb.131:                              ;   in Loop: Header=BB7_130 Depth=2
	v_subrev_u32_e32 v10, s22, v9
	v_add_u32_e32 v11, 0x1ff, v8
	v_add_u32_e32 v8, 0x200, v8
	v_mov_b64_e32 v[4:5], 0
	s_mov_b32 s64, 0
	s_mov_b64 s[54:55], s[46:47]
	s_mov_b64 s[56:57], s[48:49]
	s_mov_b32 s65, 0
	v_mov_b64_e32 v[6:7], 0
	s_branch .LBB7_133
.LBB7_132:                              ;   in Loop: Header=BB7_133 Depth=3
	s_or_b64 exec, exec, s[58:59]
	s_add_i32 s65, s65, 2
	s_add_u32 s56, s56, s20
	s_addc_u32 s57, s57, s23
	s_add_i32 s64, s64, 32
	s_add_u32 s54, s54, s20
	s_addc_u32 s55, s55, s23
	s_cmpk_eq_i32 s65, 0x200
	s_cbranch_scc1 .LBB7_128
.LBB7_133:                              ;   Parent Loop BB7_112 Depth=1
                                        ;     Parent Loop BB7_130 Depth=2
                                        ; =>    This Inner Loop Header: Depth=3
	v_cmp_ne_u32_e32 vcc, s65, v8
	s_add_i32 s66, s33, s65
	s_or_b64 s[58:59], s[42:43], vcc
	s_and_saveexec_b64 s[60:61], s[58:59]
	s_xor_b64 s[58:59], exec, s[60:61]
	s_cbranch_execz .LBB7_137
; %bb.134:                              ;   in Loop: Header=BB7_133 Depth=3
	s_cmp_lt_i32 s66, s21
	s_cselect_b64 s[60:61], -1, 0
	v_cmp_ge_i32_e32 vcc, s66, v10
	s_and_b64 s[68:69], s[60:61], vcc
	s_and_saveexec_b64 s[60:61], s[68:69]
	s_cbranch_execz .LBB7_136
; %bb.135:                              ;   in Loop: Header=BB7_133 Depth=3
	v_lshl_add_u64 v[12:13], s[54:55], 0, v[2:3]
	global_load_dwordx4 v[20:23], v[12:13], off offset:-8
	v_mov_b32_e32 v12, s64
	ds_read_b128 v[24:27], v12
	s_waitcnt vmcnt(0) lgkmcnt(0)
	v_mul_f64 v[12:13], v[22:23], v[26:27]
	v_mul_f64 v[26:27], v[20:21], v[26:27]
	v_fma_f64 v[12:13], v[20:21], v[24:25], -v[12:13]
	v_fmac_f64_e32 v[26:27], v[22:23], v[24:25]
	v_add_f64 v[6:7], v[6:7], v[12:13]
	v_add_f64 v[4:5], v[4:5], v[26:27]
.LBB7_136:                              ;   in Loop: Header=BB7_133 Depth=3
	s_or_b64 exec, exec, s[60:61]
.LBB7_137:                              ;   in Loop: Header=BB7_133 Depth=3
	s_andn2_saveexec_b64 s[58:59], s[58:59]
	s_cbranch_execz .LBB7_139
; %bb.138:                              ;   in Loop: Header=BB7_133 Depth=3
	v_mov_b32_e32 v12, s64
	ds_read_b128 v[20:23], v12
	s_waitcnt lgkmcnt(0)
	v_add_f64 v[6:7], v[6:7], v[20:21]
	v_add_f64 v[4:5], v[4:5], v[22:23]
.LBB7_139:                              ;   in Loop: Header=BB7_133 Depth=3
	s_or_b64 exec, exec, s[58:59]
	v_cmp_ne_u32_e32 vcc, s65, v11
	s_or_b64 s[58:59], s[42:43], vcc
	s_and_saveexec_b64 s[60:61], s[58:59]
	s_xor_b64 s[58:59], exec, s[60:61]
	s_cbranch_execz .LBB7_143
; %bb.140:                              ;   in Loop: Header=BB7_133 Depth=3
	s_add_i32 s66, s66, 1
	s_cmp_lt_i32 s66, s21
	s_cselect_b64 s[60:61], -1, 0
	v_cmp_ge_i32_e32 vcc, s66, v10
	s_and_b64 s[66:67], s[60:61], vcc
	s_and_saveexec_b64 s[60:61], s[66:67]
	s_cbranch_execz .LBB7_142
; %bb.141:                              ;   in Loop: Header=BB7_133 Depth=3
	v_lshl_add_u64 v[12:13], s[56:57], 0, v[2:3]
	global_load_dwordx4 v[20:23], v[12:13], off offset:-8
	v_mov_b32_e32 v12, s64
	ds_read_b128 v[24:27], v12 offset:16
	s_waitcnt vmcnt(0) lgkmcnt(0)
	v_mul_f64 v[12:13], v[22:23], v[26:27]
	v_mul_f64 v[26:27], v[20:21], v[26:27]
	v_fma_f64 v[12:13], v[20:21], v[24:25], -v[12:13]
	v_fmac_f64_e32 v[26:27], v[22:23], v[24:25]
	v_add_f64 v[6:7], v[6:7], v[12:13]
	v_add_f64 v[4:5], v[4:5], v[26:27]
.LBB7_142:                              ;   in Loop: Header=BB7_133 Depth=3
	s_or_b64 exec, exec, s[60:61]
.LBB7_143:                              ;   in Loop: Header=BB7_133 Depth=3
	s_andn2_saveexec_b64 s[58:59], s[58:59]
	s_cbranch_execz .LBB7_132
; %bb.144:                              ;   in Loop: Header=BB7_133 Depth=3
	v_mov_b32_e32 v12, s64
	ds_read_b128 v[20:23], v12 offset:16
	s_waitcnt lgkmcnt(0)
	v_add_f64 v[6:7], v[6:7], v[20:21]
	v_add_f64 v[4:5], v[4:5], v[22:23]
	s_branch .LBB7_132
.LBB7_145:                              ;   in Loop: Header=BB7_112 Depth=1
	s_or_b64 exec, exec, s[44:45]
.LBB7_146:                              ;   in Loop: Header=BB7_112 Depth=1
	s_and_saveexec_b64 s[44:45], s[0:1]
	s_cbranch_execz .LBB7_111
; %bb.147:                              ;   in Loop: Header=BB7_112 Depth=1
	v_mad_u64_u32 v[6:7], s[0:1], s16, v18, 0
	ds_read2_b64 v[2:5], v1 offset1:1
	v_mov_b32_e32 v8, v7
	v_mad_u64_u32 v[8:9], s[0:1], s17, v18, v[8:9]
	v_mov_b32_e32 v7, v8
	v_lshl_add_u64 v[6:7], v[6:7], 4, s[10:11]
	s_waitcnt lgkmcnt(0)
	global_store_dwordx4 v[6:7], v[2:5], off
	s_branch .LBB7_111
.LBB7_148:
	s_mov_b64 s[0:1], 0
.LBB7_149:
	s_andn2_b64 vcc, exec, s[0:1]
	s_cbranch_vccnz .LBB7_189
; %bb.150:
	s_andn2_b64 vcc, exec, s[12:13]
	s_cbranch_vccnz .LBB7_189
; %bb.151:
	s_add_i32 s34, s21, 0xfffffe00
	s_add_i32 s12, s21, -1
	s_add_u32 s2, s28, s30
	s_addc_u32 s3, s29, s31
	s_ashr_i32 s23, s22, 31
	s_lshl_b64 s[0:1], s[22:23], 4
	s_add_u32 s2, s2, s0
	s_addc_u32 s3, s3, s1
	s_ashr_i32 s13, s12, 31
	s_lshl_b64 s[0:1], s[12:13], 4
	s_sub_u32 s0, s2, s0
	s_subb_u32 s1, s3, s1
	s_add_u32 s14, s4, s0
	s_addc_u32 s15, s5, s1
	s_lshl_b64 s[18:19], s[8:9], 4
	s_add_u32 s13, s18, 16
	s_addc_u32 s20, s19, 0
	s_or_b32 s0, s0, 8
	s_add_u32 s28, s4, s0
	s_addc_u32 s29, s5, s1
	s_add_u32 s0, s6, s26
	s_addc_u32 s1, s7, s27
	;; [unrolled: 2-line block ×3, first 2 shown]
	s_ashr_i32 s3, s21, 31
	s_mov_b32 s2, s21
	s_lshl_b64 s[0:1], s[0:1], 4
	s_lshl_b64 s[2:3], s[2:3], 4
	s_sub_u32 s0, s0, s2
	s_subb_u32 s1, s1, s3
	s_add_u32 s0, s4, s0
	s_addc_u32 s1, s5, s1
	s_add_u32 s4, s0, 0x1ff8
	s_addc_u32 s5, s1, 0
	s_add_i32 s23, s21, 0xfffffe01
	s_add_u32 s6, s0, 0x1ff0
	s_addc_u32 s7, s1, 0
	s_add_u32 s33, s0, 0x2000
	s_addc_u32 s46, s1, 0
	s_lshl_b64 s[0:1], s[8:9], 5
	v_mov_b32_e32 v1, 0x4000
	v_add_u32_e32 v2, s21, v0
	s_add_u32 s47, s0, 0xffffffe0
	v_lshl_or_b32 v1, v0, 4, v1
	v_add_u32_e32 v14, 0xfffffe00, v2
	v_add_u32_e32 v20, 0xfffffc00, v2
	s_addc_u32 s48, s1, -1
	v_mov_b32_e32 v17, 0
	s_xor_b64 s[8:9], s[24:25], -1
	s_branch .LBB7_153
.LBB7_152:                              ;   in Loop: Header=BB7_153 Depth=1
	s_or_b64 exec, exec, s[24:25]
	s_addk_i32 s12, 0xfe00
	s_add_u32 s14, s14, 0x2000
	s_addc_u32 s15, s15, 0
	s_add_u32 s28, s28, 0x2000
	s_addc_u32 s29, s29, 0
	s_addk_i32 s21, 0xfe00
	s_add_u32 s4, s4, 0x2000
	s_addc_u32 s5, s5, 0
	s_addk_i32 s23, 0xfe00
	s_add_u32 s6, s6, 0x2000
	s_addc_u32 s7, s7, 0
	s_add_u32 s33, s33, 0x2000
	v_add_u32_e32 v14, 0xfffffe00, v14
	v_add_u32_e32 v20, 0xfffffe00, v20
	s_addc_u32 s46, s46, 0
	s_and_b64 vcc, exec, s[2:3]
	s_mov_b32 s34, s49
	s_barrier
	s_cbranch_vccnz .LBB7_189
.LBB7_153:                              ; =>This Loop Header: Depth=1
                                        ;     Child Loop BB7_157 Depth 2
                                        ;     Child Loop BB7_171 Depth 2
                                        ;       Child Loop BB7_174 Depth 3
	v_add_u32_e32 v21, s34, v0
	v_cmp_gt_i32_e32 vcc, 0, v21
	v_cmp_lt_i32_e64 s[0:1], -1, v21
	s_and_saveexec_b64 s[2:3], s[0:1]
	s_cbranch_execz .LBB7_155
; %bb.154:                              ;   in Loop: Header=BB7_153 Depth=1
	v_mad_u64_u32 v[2:3], s[24:25], s16, v21, 0
	v_mov_b32_e32 v4, v3
	v_mad_u64_u32 v[4:5], s[24:25], s17, v21, v[4:5]
	v_mov_b32_e32 v3, v4
	v_lshl_add_u64 v[2:3], v[2:3], 4, s[10:11]
	global_load_dwordx4 v[2:5], v[2:3], off
	s_waitcnt vmcnt(0)
	ds_write2_b64 v1, v[2:3], v[4:5] offset1:1
.LBB7_155:                              ;   in Loop: Header=BB7_153 Depth=1
	s_or_b64 exec, exec, s[2:3]
	v_mov_b32_e32 v15, v17
	v_lshl_add_u64 v[18:19], v[14:15], 4, s[28:29]
	v_add_u32_e32 v15, s22, v21
	s_movk_i32 s35, 0x1ff
	s_movk_i32 s36, 0x5ff0
	s_xor_b64 s[24:25], vcc, -1
	s_mov_b32 s37, s12
	s_mov_b64 s[26:27], s[14:15]
	s_waitcnt lgkmcnt(0)
	s_barrier
	s_branch .LBB7_157
.LBB7_156:                              ;   in Loop: Header=BB7_157 Depth=2
                                        ; implicit-def: $sgpr35
                                        ; implicit-def: $sgpr36
                                        ; implicit-def: $sgpr26_sgpr27
                                        ; implicit-def: $sgpr37
                                        ; implicit-def: $vgpr18_vgpr19
	s_cbranch_execnz .LBB7_167
.LBB7_157:                              ;   Parent Loop BB7_153 Depth=1
                                        ; =>  This Inner Loop Header: Depth=2
	s_add_i32 s38, s12, s35
	s_addk_i32 s38, 0xfe01
	s_cmp_lt_i32 s38, 0
	s_cbranch_scc1 .LBB7_156
; %bb.158:                              ;   in Loop: Header=BB7_157 Depth=2
	v_cmp_eq_u32_e32 vcc, s35, v0
	s_and_b64 s[30:31], s[8:9], vcc
	s_and_saveexec_b64 s[2:3], s[30:31]
	s_cbranch_execz .LBB7_164
; %bb.159:                              ;   in Loop: Header=BB7_157 Depth=2
	s_mul_i32 s30, s20, s37
	s_mul_hi_u32 s31, s13, s37
	s_add_i32 s31, s31, s30
	s_mul_i32 s30, s13, s37
	s_add_u32 s30, s26, s30
	s_addc_u32 s31, s27, s31
	global_load_dwordx4 v[2:5], v17, s[30:31]
	ds_read_b128 v[6:9], v1
	s_mov_b64 s[30:31], -1
                                        ; implicit-def: $vgpr10_vgpr11
	s_waitcnt vmcnt(0)
	v_cmp_ngt_f64_e64 s[40:41], |v[2:3]|, |v[4:5]|
	s_and_b64 vcc, exec, s[40:41]
	s_cbranch_vccz .LBB7_161
; %bb.160:                              ;   in Loop: Header=BB7_157 Depth=2
	v_div_scale_f64 v[10:11], s[30:31], v[4:5], v[4:5], v[2:3]
	v_rcp_f64_e32 v[12:13], v[10:11]
	v_div_scale_f64 v[22:23], vcc, v[2:3], v[4:5], v[2:3]
	v_fma_f64 v[24:25], -v[10:11], v[12:13], 1.0
	v_fmac_f64_e32 v[12:13], v[12:13], v[24:25]
	v_fma_f64 v[24:25], -v[10:11], v[12:13], 1.0
	v_fmac_f64_e32 v[12:13], v[12:13], v[24:25]
	v_mul_f64 v[24:25], v[22:23], v[12:13]
	v_fma_f64 v[10:11], -v[10:11], v[24:25], v[22:23]
	v_div_fmas_f64 v[10:11], v[10:11], v[12:13], v[24:25]
	v_div_fixup_f64 v[12:13], v[10:11], v[4:5], v[2:3]
	v_fma_f64 v[10:11], v[2:3], v[12:13], v[4:5]
	v_div_scale_f64 v[22:23], s[30:31], v[10:11], v[10:11], 1.0
	v_rcp_f64_e32 v[24:25], v[22:23]
	s_mov_b64 s[30:31], 0
	v_fma_f64 v[26:27], -v[22:23], v[24:25], 1.0
	v_fmac_f64_e32 v[24:25], v[24:25], v[26:27]
	v_fma_f64 v[26:27], -v[22:23], v[24:25], 1.0
	v_fmac_f64_e32 v[24:25], v[24:25], v[26:27]
	v_div_scale_f64 v[26:27], vcc, 1.0, v[10:11], 1.0
	v_mul_f64 v[28:29], v[26:27], v[24:25]
	v_fma_f64 v[22:23], -v[22:23], v[28:29], v[26:27]
	s_nop 1
	v_div_fmas_f64 v[22:23], v[22:23], v[24:25], v[28:29]
	v_div_fixup_f64 v[22:23], v[22:23], v[10:11], 1.0
	s_waitcnt lgkmcnt(0)
	v_fma_f64 v[10:11], v[12:13], v[6:7], v[8:9]
	v_fma_f64 v[12:13], v[12:13], v[8:9], -v[6:7]
	v_mul_f64 v[10:11], v[10:11], v[22:23]
	v_mul_f64 v[12:13], v[22:23], v[12:13]
.LBB7_161:                              ;   in Loop: Header=BB7_157 Depth=2
	s_andn2_b64 vcc, exec, s[30:31]
	s_cbranch_vccnz .LBB7_163
; %bb.162:                              ;   in Loop: Header=BB7_157 Depth=2
	v_div_scale_f64 v[10:11], s[30:31], v[2:3], v[2:3], v[4:5]
	v_rcp_f64_e32 v[12:13], v[10:11]
	v_div_scale_f64 v[22:23], vcc, v[4:5], v[2:3], v[4:5]
	v_fma_f64 v[24:25], -v[10:11], v[12:13], 1.0
	v_fmac_f64_e32 v[12:13], v[12:13], v[24:25]
	v_fma_f64 v[24:25], -v[10:11], v[12:13], 1.0
	v_fmac_f64_e32 v[12:13], v[12:13], v[24:25]
	v_mul_f64 v[24:25], v[22:23], v[12:13]
	v_fma_f64 v[10:11], -v[10:11], v[24:25], v[22:23]
	v_div_fmas_f64 v[10:11], v[10:11], v[12:13], v[24:25]
	v_div_fixup_f64 v[12:13], v[10:11], v[2:3], v[4:5]
	v_fmac_f64_e32 v[2:3], v[4:5], v[12:13]
	v_div_scale_f64 v[4:5], s[30:31], v[2:3], v[2:3], 1.0
	v_rcp_f64_e32 v[10:11], v[4:5]
	s_nop 0
	v_fma_f64 v[22:23], -v[4:5], v[10:11], 1.0
	v_fmac_f64_e32 v[10:11], v[10:11], v[22:23]
	v_fma_f64 v[22:23], -v[4:5], v[10:11], 1.0
	v_fmac_f64_e32 v[10:11], v[10:11], v[22:23]
	v_div_scale_f64 v[22:23], vcc, 1.0, v[2:3], 1.0
	v_mul_f64 v[24:25], v[22:23], v[10:11]
	v_fma_f64 v[4:5], -v[4:5], v[24:25], v[22:23]
	s_nop 1
	v_div_fmas_f64 v[4:5], v[4:5], v[10:11], v[24:25]
	v_div_fixup_f64 v[2:3], v[4:5], v[2:3], 1.0
	s_waitcnt lgkmcnt(0)
	v_fma_f64 v[4:5], v[12:13], v[8:9], v[6:7]
	v_mul_f64 v[10:11], v[2:3], v[4:5]
	v_fma_f64 v[4:5], -v[12:13], v[6:7], v[8:9]
	v_mul_f64 v[12:13], v[4:5], v[2:3]
.LBB7_163:                              ;   in Loop: Header=BB7_157 Depth=2
	ds_write_b128 v1, v[10:13]
.LBB7_164:                              ;   in Loop: Header=BB7_157 Depth=2
	s_or_b64 exec, exec, s[2:3]
	v_cmp_gt_u32_e32 vcc, s35, v0
	v_cmp_le_i32_e64 s[2:3], s38, v15
	s_and_b64 s[30:31], s[24:25], vcc
	s_and_b64 s[30:31], s[30:31], s[2:3]
	s_waitcnt lgkmcnt(0)
	s_barrier
	s_and_saveexec_b64 s[2:3], s[30:31]
	s_cbranch_execz .LBB7_166
; %bb.165:                              ;   in Loop: Header=BB7_157 Depth=2
	v_mov_b32_e32 v2, s37
	v_mad_u64_u32 v[2:3], s[30:31], s18, v2, v[18:19]
	s_mul_i32 s30, s19, s37
	s_nop 0
	v_add_u32_e32 v3, s30, v3
	global_load_dwordx4 v[2:5], v[2:3], off offset:-8
	v_mov_b32_e32 v6, s36
	ds_read_b128 v[6:9], v6
	ds_read_b128 v[10:13], v1
	s_waitcnt vmcnt(0) lgkmcnt(1)
	v_mul_f64 v[22:23], v[4:5], v[8:9]
	v_mul_f64 v[8:9], v[2:3], v[8:9]
	v_fma_f64 v[2:3], v[2:3], v[6:7], -v[22:23]
	v_fmac_f64_e32 v[8:9], v[4:5], v[6:7]
	s_waitcnt lgkmcnt(0)
	v_add_f64 v[2:3], v[10:11], -v[2:3]
	v_add_f64 v[4:5], v[12:13], -v[8:9]
	ds_write_b128 v1, v[2:5]
.LBB7_166:                              ;   in Loop: Header=BB7_157 Depth=2
	s_or_b64 exec, exec, s[2:3]
	s_add_i32 s35, s35, -1
	s_add_i32 s36, s36, -16
	s_add_u32 s26, s26, 16
	s_addc_u32 s27, s27, 0
	s_add_i32 s37, s37, -1
	s_cmp_eq_u32 s35, -1
	v_lshl_add_u64 v[18:19], v[18:19], 0, 16
	s_cselect_b64 s[2:3], -1, 0
	s_and_b64 vcc, exec, s[2:3]
	s_cbranch_vccz .LBB7_157
.LBB7_167:                              ;   in Loop: Header=BB7_153 Depth=1
	s_add_i32 s49, s34, 0xfffffe00
	s_cmp_lt_i32 s34, 1
	s_cselect_b64 s[2:3], -1, 0
	s_and_b64 vcc, exec, s[2:3]
	s_waitcnt lgkmcnt(0)
	s_barrier
	s_cbranch_vccnz .LBB7_187
; %bb.168:                              ;   in Loop: Header=BB7_153 Depth=1
	s_mul_i32 s24, s19, s34
	s_mul_hi_u32 s25, s18, s34
	s_add_i32 s25, s25, s24
	s_mul_i32 s24, s18, s34
	s_add_u32 s24, s33, s24
	s_addc_u32 s25, s46, s25
	s_mov_b64 s[26:27], 0
	v_mov_b32_e32 v16, v20
	v_mov_b32_e32 v8, v0
	s_mov_b32 s50, s49
                                        ; implicit-def: $sgpr30_sgpr31
	s_branch .LBB7_171
.LBB7_169:                              ;   in Loop: Header=BB7_171 Depth=2
	v_mad_u64_u32 v[6:7], s[36:37], s16, v9, 0
	v_mov_b32_e32 v10, v7
	v_mad_u64_u32 v[10:11], s[36:37], s17, v9, v[10:11]
	v_mov_b32_e32 v7, v10
	v_lshl_add_u64 v[18:19], v[6:7], 4, s[10:11]
	global_load_dwordx4 v[10:13], v[18:19], off
	s_add_i32 s38, s50, 0xfffffe00
	s_cmp_lt_i32 s50, 1
	s_cselect_b64 s[36:37], -1, 0
	s_andn2_b64 s[30:31], s[30:31], exec
	s_and_b64 s[36:37], s[36:37], exec
	v_add_u32_e32 v16, 0xfffffe00, v16
	s_or_b64 s[30:31], s[30:31], s[36:37]
	s_mov_b32 s50, s38
	s_waitcnt vmcnt(0)
	v_add_f64 v[4:5], v[10:11], -v[4:5]
	v_add_f64 v[6:7], v[12:13], -v[2:3]
	global_store_dwordx4 v[18:19], v[4:7], off
.LBB7_170:                              ;   in Loop: Header=BB7_171 Depth=2
	s_or_b64 exec, exec, s[34:35]
	s_and_b64 s[34:35], exec, s[30:31]
	s_or_b64 s[26:27], s[34:35], s[26:27]
	s_andn2_b64 exec, exec, s[26:27]
	s_cbranch_execz .LBB7_186
.LBB7_171:                              ;   Parent Loop BB7_153 Depth=1
                                        ; =>  This Loop Header: Depth=2
                                        ;       Child Loop BB7_174 Depth 3
	v_add_u32_e32 v9, s50, v0
	v_cmp_lt_i32_e32 vcc, -1, v9
	s_or_b64 s[30:31], s[30:31], exec
	s_and_saveexec_b64 s[34:35], vcc
	s_cbranch_execz .LBB7_170
; %bb.172:                              ;   in Loop: Header=BB7_171 Depth=2
	v_lshlrev_b64 v[6:7], 4, v[16:17]
	v_add_u32_e32 v10, s22, v9
	v_add_u32_e32 v11, 0xfffffdff, v8
	;; [unrolled: 1-line block ×3, first 2 shown]
	v_mov_b64_e32 v[2:3], 0
	s_mov_b32 s51, 0
	s_movk_i32 s52, 0x4000
	s_mov_b64 s[36:37], s[24:25]
	s_mov_b64 s[38:39], s[6:7]
	s_mov_b32 s53, s23
	s_mov_b64 s[40:41], s[4:5]
	v_mov_b64_e32 v[4:5], 0
	s_branch .LBB7_174
.LBB7_173:                              ;   in Loop: Header=BB7_174 Depth=3
	s_or_b64 exec, exec, s[42:43]
	s_add_i32 s51, s51, 2
	s_add_i32 s52, s52, 32
	s_add_u32 s40, s40, 0xffffffe0
	s_addc_u32 s41, s41, -1
	s_add_i32 s53, s53, 2
	s_add_u32 s38, s38, 0xffffffe0
	s_addc_u32 s39, s39, -1
	s_add_u32 s36, s36, s47
	s_addc_u32 s37, s37, s48
	s_cmpk_eq_i32 s51, 0x200
	s_cbranch_scc1 .LBB7_169
.LBB7_174:                              ;   Parent Loop BB7_153 Depth=1
                                        ;     Parent Loop BB7_171 Depth=2
                                        ; =>    This Inner Loop Header: Depth=3
	v_cmp_ne_u32_e32 vcc, s51, v8
	s_add_i32 s54, s21, s51
	s_or_b64 s[42:43], s[8:9], vcc
	s_and_saveexec_b64 s[44:45], s[42:43]
	s_xor_b64 s[42:43], exec, s[44:45]
	s_cbranch_execz .LBB7_178
; %bb.175:                              ;   in Loop: Header=BB7_174 Depth=3
	s_add_i32 s44, s54, 0xfffffe00
	v_cmp_le_i32_e32 vcc, s44, v10
	s_and_saveexec_b64 s[44:45], vcc
	s_cbranch_execz .LBB7_177
; %bb.176:                              ;   in Loop: Header=BB7_174 Depth=3
	v_lshl_add_u64 v[12:13], s[36:37], 0, v[6:7]
	global_load_dwordx4 v[22:25], v[12:13], off
	v_mov_b32_e32 v12, s52
	ds_read_b128 v[26:29], v12
	s_waitcnt vmcnt(0) lgkmcnt(0)
	v_mul_f64 v[12:13], v[24:25], v[28:29]
	v_mul_f64 v[18:19], v[22:23], v[28:29]
	v_fma_f64 v[12:13], v[22:23], v[26:27], -v[12:13]
	v_fmac_f64_e32 v[18:19], v[24:25], v[26:27]
	v_add_f64 v[4:5], v[4:5], v[12:13]
	v_add_f64 v[2:3], v[2:3], v[18:19]
.LBB7_177:                              ;   in Loop: Header=BB7_174 Depth=3
	s_or_b64 exec, exec, s[44:45]
.LBB7_178:                              ;   in Loop: Header=BB7_174 Depth=3
	s_andn2_saveexec_b64 s[42:43], s[42:43]
	s_cbranch_execz .LBB7_180
; %bb.179:                              ;   in Loop: Header=BB7_174 Depth=3
	v_mov_b32_e32 v12, s52
	ds_read_b128 v[22:25], v12
	s_waitcnt lgkmcnt(0)
	v_add_f64 v[4:5], v[4:5], v[22:23]
	v_add_f64 v[2:3], v[2:3], v[24:25]
.LBB7_180:                              ;   in Loop: Header=BB7_174 Depth=3
	s_or_b64 exec, exec, s[42:43]
	v_cmp_ne_u32_e32 vcc, s51, v11
	s_or_b64 s[42:43], s[8:9], vcc
	s_and_saveexec_b64 s[44:45], s[42:43]
	s_xor_b64 s[42:43], exec, s[44:45]
	s_cbranch_execz .LBB7_184
; %bb.181:                              ;   in Loop: Header=BB7_174 Depth=3
	s_addk_i32 s54, 0xfe01
	v_cmp_le_i32_e32 vcc, s54, v10
	s_and_saveexec_b64 s[44:45], vcc
	s_cbranch_execz .LBB7_183
; %bb.182:                              ;   in Loop: Header=BB7_174 Depth=3
	s_mul_i32 s54, s19, s53
	s_mul_hi_u32 s55, s18, s53
	s_add_i32 s57, s55, s54
	s_mul_i32 s56, s18, s53
	s_add_u32 s54, s40, s56
	s_addc_u32 s55, s41, s57
	s_add_u32 s56, s38, s56
	s_addc_u32 s57, s39, s57
	v_lshl_add_u64 v[12:13], s[56:57], 0, v[6:7]
	v_lshl_add_u64 v[18:19], s[54:55], 0, v[6:7]
	global_load_dwordx2 v[18:19], v[18:19], off
	s_nop 0
	global_load_dwordx2 v[12:13], v[12:13], off
	v_mov_b32_e32 v15, s52
	ds_read_b128 v[22:25], v15 offset:16
	s_waitcnt vmcnt(1) lgkmcnt(0)
	v_mul_f64 v[26:27], v[18:19], v[24:25]
	s_waitcnt vmcnt(0)
	v_fma_f64 v[26:27], v[12:13], v[22:23], -v[26:27]
	v_mul_f64 v[12:13], v[12:13], v[24:25]
	v_fmac_f64_e32 v[12:13], v[18:19], v[22:23]
	v_add_f64 v[4:5], v[4:5], v[26:27]
	v_add_f64 v[2:3], v[2:3], v[12:13]
.LBB7_183:                              ;   in Loop: Header=BB7_174 Depth=3
	s_or_b64 exec, exec, s[44:45]
.LBB7_184:                              ;   in Loop: Header=BB7_174 Depth=3
	s_andn2_saveexec_b64 s[42:43], s[42:43]
	s_cbranch_execz .LBB7_173
; %bb.185:                              ;   in Loop: Header=BB7_174 Depth=3
	v_mov_b32_e32 v12, s52
	ds_read_b128 v[22:25], v12 offset:16
	s_waitcnt lgkmcnt(0)
	v_add_f64 v[4:5], v[4:5], v[22:23]
	v_add_f64 v[2:3], v[2:3], v[24:25]
	s_branch .LBB7_173
.LBB7_186:                              ;   in Loop: Header=BB7_153 Depth=1
	s_or_b64 exec, exec, s[26:27]
.LBB7_187:                              ;   in Loop: Header=BB7_153 Depth=1
	s_and_saveexec_b64 s[24:25], s[0:1]
	s_cbranch_execz .LBB7_152
; %bb.188:                              ;   in Loop: Header=BB7_153 Depth=1
	v_mad_u64_u32 v[6:7], s[0:1], s16, v21, 0
	ds_read2_b64 v[2:5], v1 offset1:1
	v_mov_b32_e32 v8, v7
	v_mad_u64_u32 v[8:9], s[0:1], s17, v21, v[8:9]
	v_mov_b32_e32 v7, v8
	v_lshl_add_u64 v[6:7], v[6:7], 4, s[10:11]
	s_waitcnt lgkmcnt(0)
	global_store_dwordx4 v[6:7], v[2:5], off
	s_branch .LBB7_152
.LBB7_189:
	s_endpgm
	.section	.rodata,"a",@progbits
	.p2align	6, 0x0
	.amdhsa_kernel _ZL19rocblas_tbsv_kernelILb0ELi512EPK19rocblas_complex_numIdEPS1_Ev18rocblas_operation_bbiiT1_lllT2_lll
		.amdhsa_group_segment_fixed_size 32768
		.amdhsa_private_segment_fixed_size 0
		.amdhsa_kernarg_size 80
		.amdhsa_user_sgpr_count 2
		.amdhsa_user_sgpr_dispatch_ptr 0
		.amdhsa_user_sgpr_queue_ptr 0
		.amdhsa_user_sgpr_kernarg_segment_ptr 1
		.amdhsa_user_sgpr_dispatch_id 0
		.amdhsa_user_sgpr_kernarg_preload_length 0
		.amdhsa_user_sgpr_kernarg_preload_offset 0
		.amdhsa_user_sgpr_private_segment_size 0
		.amdhsa_uses_dynamic_stack 0
		.amdhsa_enable_private_segment 0
		.amdhsa_system_sgpr_workgroup_id_x 1
		.amdhsa_system_sgpr_workgroup_id_y 0
		.amdhsa_system_sgpr_workgroup_id_z 0
		.amdhsa_system_sgpr_workgroup_info 0
		.amdhsa_system_vgpr_workitem_id 0
		.amdhsa_next_free_vgpr 34
		.amdhsa_next_free_sgpr 70
		.amdhsa_accum_offset 36
		.amdhsa_reserve_vcc 1
		.amdhsa_float_round_mode_32 0
		.amdhsa_float_round_mode_16_64 0
		.amdhsa_float_denorm_mode_32 3
		.amdhsa_float_denorm_mode_16_64 3
		.amdhsa_dx10_clamp 1
		.amdhsa_ieee_mode 1
		.amdhsa_fp16_overflow 0
		.amdhsa_tg_split 0
		.amdhsa_exception_fp_ieee_invalid_op 0
		.amdhsa_exception_fp_denorm_src 0
		.amdhsa_exception_fp_ieee_div_zero 0
		.amdhsa_exception_fp_ieee_overflow 0
		.amdhsa_exception_fp_ieee_underflow 0
		.amdhsa_exception_fp_ieee_inexact 0
		.amdhsa_exception_int_div_zero 0
	.end_amdhsa_kernel
	.section	.text._ZL19rocblas_tbsv_kernelILb0ELi512EPK19rocblas_complex_numIdEPS1_Ev18rocblas_operation_bbiiT1_lllT2_lll,"axG",@progbits,_ZL19rocblas_tbsv_kernelILb0ELi512EPK19rocblas_complex_numIdEPS1_Ev18rocblas_operation_bbiiT1_lllT2_lll,comdat
.Lfunc_end7:
	.size	_ZL19rocblas_tbsv_kernelILb0ELi512EPK19rocblas_complex_numIdEPS1_Ev18rocblas_operation_bbiiT1_lllT2_lll, .Lfunc_end7-_ZL19rocblas_tbsv_kernelILb0ELi512EPK19rocblas_complex_numIdEPS1_Ev18rocblas_operation_bbiiT1_lllT2_lll
                                        ; -- End function
	.set _ZL19rocblas_tbsv_kernelILb0ELi512EPK19rocblas_complex_numIdEPS1_Ev18rocblas_operation_bbiiT1_lllT2_lll.num_vgpr, 34
	.set _ZL19rocblas_tbsv_kernelILb0ELi512EPK19rocblas_complex_numIdEPS1_Ev18rocblas_operation_bbiiT1_lllT2_lll.num_agpr, 0
	.set _ZL19rocblas_tbsv_kernelILb0ELi512EPK19rocblas_complex_numIdEPS1_Ev18rocblas_operation_bbiiT1_lllT2_lll.numbered_sgpr, 70
	.set _ZL19rocblas_tbsv_kernelILb0ELi512EPK19rocblas_complex_numIdEPS1_Ev18rocblas_operation_bbiiT1_lllT2_lll.num_named_barrier, 0
	.set _ZL19rocblas_tbsv_kernelILb0ELi512EPK19rocblas_complex_numIdEPS1_Ev18rocblas_operation_bbiiT1_lllT2_lll.private_seg_size, 0
	.set _ZL19rocblas_tbsv_kernelILb0ELi512EPK19rocblas_complex_numIdEPS1_Ev18rocblas_operation_bbiiT1_lllT2_lll.uses_vcc, 1
	.set _ZL19rocblas_tbsv_kernelILb0ELi512EPK19rocblas_complex_numIdEPS1_Ev18rocblas_operation_bbiiT1_lllT2_lll.uses_flat_scratch, 0
	.set _ZL19rocblas_tbsv_kernelILb0ELi512EPK19rocblas_complex_numIdEPS1_Ev18rocblas_operation_bbiiT1_lllT2_lll.has_dyn_sized_stack, 0
	.set _ZL19rocblas_tbsv_kernelILb0ELi512EPK19rocblas_complex_numIdEPS1_Ev18rocblas_operation_bbiiT1_lllT2_lll.has_recursion, 0
	.set _ZL19rocblas_tbsv_kernelILb0ELi512EPK19rocblas_complex_numIdEPS1_Ev18rocblas_operation_bbiiT1_lllT2_lll.has_indirect_call, 0
	.section	.AMDGPU.csdata,"",@progbits
; Kernel info:
; codeLenInByte = 8016
; TotalNumSgprs: 76
; NumVgprs: 34
; NumAgprs: 0
; TotalNumVgprs: 34
; ScratchSize: 0
; MemoryBound: 0
; FloatMode: 240
; IeeeMode: 1
; LDSByteSize: 32768 bytes/workgroup (compile time only)
; SGPRBlocks: 9
; VGPRBlocks: 4
; NumSGPRsForWavesPerEU: 76
; NumVGPRsForWavesPerEU: 34
; AccumOffset: 36
; Occupancy: 8
; WaveLimiterHint : 0
; COMPUTE_PGM_RSRC2:SCRATCH_EN: 0
; COMPUTE_PGM_RSRC2:USER_SGPR: 2
; COMPUTE_PGM_RSRC2:TRAP_HANDLER: 0
; COMPUTE_PGM_RSRC2:TGID_X_EN: 1
; COMPUTE_PGM_RSRC2:TGID_Y_EN: 0
; COMPUTE_PGM_RSRC2:TGID_Z_EN: 0
; COMPUTE_PGM_RSRC2:TIDIG_COMP_CNT: 0
; COMPUTE_PGM_RSRC3_GFX90A:ACCUM_OFFSET: 8
; COMPUTE_PGM_RSRC3_GFX90A:TG_SPLIT: 0
	.section	.text._ZL19rocblas_tbsv_kernelILb1ELi512EPKPKfPKPfEv18rocblas_operation_bbiiT1_lllT2_lll,"axG",@progbits,_ZL19rocblas_tbsv_kernelILb1ELi512EPKPKfPKPfEv18rocblas_operation_bbiiT1_lllT2_lll,comdat
	.globl	_ZL19rocblas_tbsv_kernelILb1ELi512EPKPKfPKPfEv18rocblas_operation_bbiiT1_lllT2_lll ; -- Begin function _ZL19rocblas_tbsv_kernelILb1ELi512EPKPKfPKPfEv18rocblas_operation_bbiiT1_lllT2_lll
	.p2align	8
	.type	_ZL19rocblas_tbsv_kernelILb1ELi512EPKPKfPKPfEv18rocblas_operation_bbiiT1_lllT2_lll,@function
_ZL19rocblas_tbsv_kernelILb1ELi512EPKPKfPKPfEv18rocblas_operation_bbiiT1_lllT2_lll: ; @_ZL19rocblas_tbsv_kernelILb1ELi512EPKPKfPKPfEv18rocblas_operation_bbiiT1_lllT2_lll
; %bb.0:
	s_load_dwordx2 s[34:35], s[0:1], 0x0
	s_load_dwordx4 s[4:7], s[0:1], 0x4
	s_load_dwordx4 s[8:11], s[0:1], 0x10
	s_load_dwordx2 s[12:13], s[0:1], 0x20
	s_mov_b32 s3, 0
	s_waitcnt lgkmcnt(0)
	s_bitcmp1_b32 s35, 0
	s_cselect_b64 s[14:15], -1, 0
	s_xor_b64 s[26:27], s[14:15], -1
	s_bitcmp1_b32 s4, 8
	s_cselect_b64 s[18:19], -1, 0
	s_lshl_b64 s[2:3], s[2:3], 3
	s_add_u32 s14, s8, s2
	s_addc_u32 s15, s9, s3
	s_load_dwordx2 s[20:21], s[14:15], 0x0
	s_load_dwordx4 s[28:31], s[0:1], 0x30
	s_load_dwordx2 s[8:9], s[0:1], 0x40
	s_lshl_b64 s[22:23], s[10:11], 2
	s_waitcnt lgkmcnt(0)
	s_add_u32 s14, s20, s22
	s_addc_u32 s15, s21, s23
	s_add_u32 s0, s28, s2
	s_addc_u32 s1, s29, s3
	s_load_dwordx2 s[0:1], s[0:1], 0x0
	s_lshl_b64 s[2:3], s[30:31], 2
	s_waitcnt lgkmcnt(0)
	s_add_u32 s16, s0, s2
	s_addc_u32 s17, s1, s3
	s_cmp_gt_i32 s5, 0
	s_cselect_b64 s[24:25], -1, 0
	s_cmpk_lg_i32 s34, 0x6f
	s_mov_b64 s[0:1], -1
	s_cbranch_scc0 .LBB8_109
; %bb.1:
	s_and_b64 vcc, exec, s[26:27]
	s_cbranch_vccz .LBB8_55
; %bb.2:
	s_andn2_b64 vcc, exec, s[24:25]
	s_cbranch_vccnz .LBB8_54
; %bb.3:
	s_ashr_i32 s1, s5, 31
	s_mov_b32 s0, s5
	s_add_i32 s33, s5, 0xfffffe00
	s_lshl_b64 s[0:1], s[0:1], 2
	s_add_u32 s0, s22, s0
	s_addc_u32 s1, s23, s1
	s_add_u32 s0, s20, s0
	s_addc_u32 s1, s21, s1
	v_mov_b32_e32 v1, 0x1800
	s_add_u32 s28, s0, 0xfffff800
	v_add_u32_e32 v2, s5, v0
	v_lshl_or_b32 v1, v0, 2, v1
	v_sub_u32_e32 v8, 0, v0
	v_add_u32_e32 v9, 0xfffffe01, v0
	s_addc_u32 s29, s1, -1
	v_add_u32_e32 v10, 0xfffffc00, v2
	s_lshl_b64 s[30:31], s[12:13], 2
	s_xor_b64 s[34:35], s[18:19], -1
	v_mov_b32_e32 v3, 0
	s_mov_b64 s[36:37], 0x800
	s_mov_b32 s4, s5
	s_branch .LBB8_5
.LBB8_4:                                ;   in Loop: Header=BB8_5 Depth=1
	s_or_b64 exec, exec, s[38:39]
	s_addk_i32 s4, 0xfe00
	s_add_u32 s28, s28, 0xfffff800
	s_addc_u32 s29, s29, -1
	v_add_u32_e32 v10, 0xfffffe00, v10
	s_andn2_b64 vcc, exec, s[2:3]
	s_mov_b32 s33, s7
	s_waitcnt lgkmcnt(0)
	s_barrier
	s_cbranch_vccz .LBB8_54
.LBB8_5:                                ; =>This Loop Header: Depth=1
                                        ;     Child Loop BB8_10 Depth 2
                                        ;     Child Loop BB8_24 Depth 2
                                        ;       Child Loop BB8_27 Depth 3
	v_add_u32_e32 v11, s33, v0
	v_cmp_gt_i32_e32 vcc, 0, v11
	v_cmp_lt_i32_e64 s[0:1], -1, v11
	s_and_saveexec_b64 s[2:3], s[0:1]
	s_cbranch_execz .LBB8_7
; %bb.6:                                ;   in Loop: Header=BB8_5 Depth=1
	v_mad_u64_u32 v[4:5], s[38:39], s8, v11, 0
	v_mov_b32_e32 v2, v5
	v_mad_u64_u32 v[6:7], s[38:39], s9, v11, v[2:3]
	v_mov_b32_e32 v5, v6
	v_lshl_add_u64 v[4:5], v[4:5], 2, s[16:17]
	flat_load_dword v2, v[4:5]
	s_waitcnt vmcnt(0) lgkmcnt(0)
	ds_write_b32 v1, v2
.LBB8_7:                                ;   in Loop: Header=BB8_5 Depth=1
	s_or_b64 exec, exec, s[2:3]
	v_ashrrev_i32_e32 v2, 31, v11
	v_mul_lo_u32 v7, s13, v11
	v_mul_lo_u32 v2, s12, v2
	v_mad_u64_u32 v[4:5], s[2:3], s12, v11, 0
	v_add3_u32 v5, v5, v2, v7
	v_add_u32_e32 v6, s6, v11
	v_lshl_add_u64 v[4:5], v[4:5], 2, s[14:15]
	s_movk_i32 s7, 0x1ff
	s_mov_b32 s40, 0
	s_movk_i32 s41, 0x1ff8
	s_xor_b64 s[38:39], vcc, -1
	s_waitcnt lgkmcnt(0)
	s_barrier
	s_branch .LBB8_10
.LBB8_8:                                ;   in Loop: Header=BB8_10 Depth=2
	s_or_b64 exec, exec, s[2:3]
	s_add_i32 s7, s7, -2
	s_add_i32 s40, s40, -2
	;; [unrolled: 1-line block ×3, first 2 shown]
	s_cmp_eq_u32 s42, 0
	s_cselect_b64 s[2:3], -1, 0
.LBB8_9:                                ;   in Loop: Header=BB8_10 Depth=2
	s_and_b64 vcc, exec, s[2:3]
	s_cbranch_vccnz .LBB8_20
.LBB8_10:                               ;   Parent Loop BB8_5 Depth=1
                                        ; =>  This Inner Loop Header: Depth=2
	s_add_i32 s42, s4, s40
	s_add_i32 s43, s42, -1
	s_cmp_lt_i32 s43, 0
	s_mov_b64 s[2:3], -1
	s_cbranch_scc1 .LBB8_9
; %bb.11:                               ;   in Loop: Header=BB8_10 Depth=2
	v_cmp_eq_u32_e32 vcc, s40, v9
	s_and_b64 s[44:45], s[34:35], vcc
	s_and_saveexec_b64 s[2:3], s[44:45]
	s_cbranch_execz .LBB8_13
; %bb.12:                               ;   in Loop: Header=BB8_10 Depth=2
	s_mul_i32 s44, s13, s43
	s_mul_hi_u32 s45, s12, s43
	s_add_i32 s45, s45, s44
	s_mul_i32 s44, s12, s43
	s_lshl_b64 s[44:45], s[44:45], 2
	s_add_u32 s44, s14, s44
	s_addc_u32 s45, s15, s45
	v_mov_b64_e32 v[12:13], s[44:45]
	flat_load_dword v2, v[12:13]
	ds_read_b32 v7, v1
	s_waitcnt vmcnt(0) lgkmcnt(0)
	v_div_scale_f32 v12, s[44:45], v2, v2, v7
	v_rcp_f32_e32 v13, v12
	v_div_scale_f32 v14, vcc, v7, v2, v7
	v_fma_f32 v15, -v12, v13, 1.0
	v_fmac_f32_e32 v13, v15, v13
	v_mul_f32_e32 v15, v14, v13
	v_fma_f32 v16, -v12, v15, v14
	v_fmac_f32_e32 v15, v16, v13
	v_fma_f32 v12, -v12, v15, v14
	v_div_fmas_f32 v12, v12, v13, v15
	v_div_fixup_f32 v2, v12, v2, v7
	ds_write_b32 v1, v2
.LBB8_13:                               ;   in Loop: Header=BB8_10 Depth=2
	s_or_b64 exec, exec, s[2:3]
	v_cmp_gt_u32_e32 vcc, s7, v0
	v_cmp_le_i32_e64 s[2:3], s43, v6
	s_and_b64 s[44:45], s[38:39], vcc
	s_and_b64 s[44:45], s[44:45], s[2:3]
	s_waitcnt lgkmcnt(0)
	s_barrier
	s_and_saveexec_b64 s[2:3], s[44:45]
	s_cbranch_execz .LBB8_15
; %bb.14:                               ;   in Loop: Header=BB8_10 Depth=2
	v_add_u32_e32 v2, s40, v8
	v_add_u32_e32 v2, 0x1ff, v2
	v_lshl_add_u64 v[12:13], v[2:3], 2, v[4:5]
	flat_load_dword v2, v[12:13]
	v_mov_b32_e32 v7, s41
	ds_read_b32 v7, v7 offset:4
	ds_read_b32 v12, v1
	s_waitcnt vmcnt(0) lgkmcnt(0)
	v_fma_f32 v2, -v2, v7, v12
	ds_write_b32 v1, v2
.LBB8_15:                               ;   in Loop: Header=BB8_10 Depth=2
	s_or_b64 exec, exec, s[2:3]
	s_add_i32 s43, s42, -2
	s_cmp_lt_i32 s43, 0
	s_mov_b64 s[2:3], -1
	s_cbranch_scc1 .LBB8_9
; %bb.16:                               ;   in Loop: Header=BB8_10 Depth=2
	s_add_i32 s42, s7, -1
	v_cmp_eq_u32_e32 vcc, s42, v0
	s_and_b64 s[44:45], s[34:35], vcc
	s_and_saveexec_b64 s[2:3], s[44:45]
	s_cbranch_execz .LBB8_18
; %bb.17:                               ;   in Loop: Header=BB8_10 Depth=2
	s_mul_i32 s44, s13, s43
	s_mul_hi_u32 s45, s12, s43
	s_add_i32 s45, s45, s44
	s_mul_i32 s44, s12, s43
	s_lshl_b64 s[44:45], s[44:45], 2
	s_add_u32 s44, s14, s44
	s_addc_u32 s45, s15, s45
	v_mov_b64_e32 v[12:13], s[44:45]
	flat_load_dword v2, v[12:13]
	ds_read_b32 v7, v1
	s_waitcnt vmcnt(0) lgkmcnt(0)
	v_div_scale_f32 v12, s[44:45], v2, v2, v7
	v_rcp_f32_e32 v13, v12
	v_div_scale_f32 v14, vcc, v7, v2, v7
	v_fma_f32 v15, -v12, v13, 1.0
	v_fmac_f32_e32 v13, v15, v13
	v_mul_f32_e32 v15, v14, v13
	v_fma_f32 v16, -v12, v15, v14
	v_fmac_f32_e32 v15, v16, v13
	v_fma_f32 v12, -v12, v15, v14
	v_div_fmas_f32 v12, v12, v13, v15
	v_div_fixup_f32 v2, v12, v2, v7
	ds_write_b32 v1, v2
.LBB8_18:                               ;   in Loop: Header=BB8_10 Depth=2
	s_or_b64 exec, exec, s[2:3]
	v_cmp_gt_u32_e32 vcc, s42, v0
	v_cmp_le_i32_e64 s[2:3], s43, v6
	s_and_b64 s[44:45], s[38:39], vcc
	s_and_b64 s[44:45], s[44:45], s[2:3]
	s_waitcnt lgkmcnt(0)
	s_barrier
	s_and_saveexec_b64 s[2:3], s[44:45]
	s_cbranch_execz .LBB8_8
; %bb.19:                               ;   in Loop: Header=BB8_10 Depth=2
	v_add_u32_e32 v2, s40, v8
	v_add_u32_e32 v2, 0x1fe, v2
	v_lshl_add_u64 v[12:13], v[2:3], 2, v[4:5]
	flat_load_dword v2, v[12:13]
	v_mov_b32_e32 v7, s41
	ds_read_b32 v7, v7
	ds_read_b32 v12, v1
	s_waitcnt vmcnt(0) lgkmcnt(0)
	v_fma_f32 v2, -v2, v7, v12
	ds_write_b32 v1, v2
	s_branch .LBB8_8
.LBB8_20:                               ;   in Loop: Header=BB8_5 Depth=1
	s_add_i32 s7, s33, 0xfffffe00
	s_cmp_lt_i32 s33, 1
	s_cselect_b64 s[2:3], -1, 0
	s_and_b64 vcc, exec, s[2:3]
	s_waitcnt lgkmcnt(0)
	s_barrier
	s_cbranch_vccnz .LBB8_52
; %bb.21:                               ;   in Loop: Header=BB8_5 Depth=1
	v_mad_i64_i32 v[4:5], s[38:39], v10, -4, s[28:29]
	s_mov_b64 s[38:39], 0
	v_mov_b32_e32 v2, v10
	v_mov_b32_e32 v12, v0
	s_mov_b32 s33, s7
                                        ; implicit-def: $sgpr40_sgpr41
	s_branch .LBB8_24
.LBB8_22:                               ;   in Loop: Header=BB8_24 Depth=2
	v_mad_u64_u32 v[6:7], s[44:45], s8, v13, 0
	v_mov_b32_e32 v16, v7
	v_mad_u64_u32 v[16:17], s[44:45], s9, v13, v[16:17]
	v_mov_b32_e32 v7, v16
	v_lshl_add_u64 v[6:7], v[6:7], 2, s[16:17]
	flat_load_dword v13, v[6:7]
	s_add_i32 s46, s33, 0xfffffe00
	s_cmp_lt_i32 s33, 1
	s_cselect_b64 s[44:45], -1, 0
	s_andn2_b64 s[40:41], s[40:41], exec
	s_and_b64 s[44:45], s[44:45], exec
	v_lshl_add_u64 v[4:5], v[4:5], 0, s[36:37]
	v_add_u32_e32 v2, 0xfffffe00, v2
	s_or_b64 s[40:41], s[40:41], s[44:45]
	s_mov_b32 s33, s46
	s_waitcnt vmcnt(0) lgkmcnt(0)
	v_sub_f32_e32 v13, v13, v14
	flat_store_dword v[6:7], v13
.LBB8_23:                               ;   in Loop: Header=BB8_24 Depth=2
	s_or_b64 exec, exec, s[42:43]
	s_and_b64 s[42:43], exec, s[40:41]
	s_or_b64 s[38:39], s[42:43], s[38:39]
	s_andn2_b64 exec, exec, s[38:39]
	s_cbranch_execz .LBB8_51
.LBB8_24:                               ;   Parent Loop BB8_5 Depth=1
                                        ; =>  This Loop Header: Depth=2
                                        ;       Child Loop BB8_27 Depth 3
	v_add_u32_e32 v13, s33, v0
	v_cmp_lt_i32_e32 vcc, -1, v13
	s_or_b64 s[40:41], s[40:41], exec
	s_and_saveexec_b64 s[42:43], vcc
	s_cbranch_execz .LBB8_23
; %bb.25:                               ;   in Loop: Header=BB8_24 Depth=2
	v_mad_u64_u32 v[6:7], s[44:45], s30, v2, v[4:5]
	v_mov_b32_e32 v14, v7
	v_mad_u64_u32 v[14:15], s[44:45], s31, v2, v[14:15]
	v_mov_b32_e32 v7, v14
	v_add_u32_e32 v15, s6, v13
	v_add_u32_e32 v16, 0xfffffdfd, v12
	v_add_u32_e32 v17, 0xfffffdfe, v12
	v_add_u32_e32 v18, 0xfffffdff, v12
	v_add_u32_e32 v12, 0xfffffe00, v12
	v_mov_b32_e32 v14, 0
	s_mov_b32 s48, 0
	s_movk_i32 s49, 0x1800
	s_branch .LBB8_27
.LBB8_26:                               ;   in Loop: Header=BB8_27 Depth=3
	s_or_b64 exec, exec, s[44:45]
	s_add_i32 s48, s48, 4
	s_add_i32 s49, s49, 16
	s_cmpk_eq_i32 s48, 0x200
	v_lshl_add_u64 v[6:7], v[6:7], 0, 16
	s_cbranch_scc1 .LBB8_22
.LBB8_27:                               ;   Parent Loop BB8_5 Depth=1
                                        ;     Parent Loop BB8_24 Depth=2
                                        ; =>    This Inner Loop Header: Depth=3
	v_cmp_ne_u32_e32 vcc, s48, v12
	s_add_i32 s50, s4, s48
	s_or_b64 s[44:45], s[34:35], vcc
	s_and_saveexec_b64 s[46:47], s[44:45]
	s_xor_b64 s[44:45], exec, s[46:47]
	s_cbranch_execz .LBB8_31
; %bb.28:                               ;   in Loop: Header=BB8_27 Depth=3
	s_add_i32 s46, s50, 0xfffffe00
	v_cmp_le_i32_e32 vcc, s46, v15
	s_and_saveexec_b64 s[46:47], vcc
	s_cbranch_execz .LBB8_30
; %bb.29:                               ;   in Loop: Header=BB8_27 Depth=3
	flat_load_dword v19, v[6:7]
	v_mov_b32_e32 v20, s49
	ds_read_b32 v20, v20
	s_waitcnt vmcnt(0) lgkmcnt(0)
	v_fmac_f32_e32 v14, v19, v20
.LBB8_30:                               ;   in Loop: Header=BB8_27 Depth=3
	s_or_b64 exec, exec, s[46:47]
.LBB8_31:                               ;   in Loop: Header=BB8_27 Depth=3
	s_andn2_saveexec_b64 s[44:45], s[44:45]
	s_cbranch_execz .LBB8_33
; %bb.32:                               ;   in Loop: Header=BB8_27 Depth=3
	v_mov_b32_e32 v19, s49
	ds_read_b32 v19, v19
	s_waitcnt lgkmcnt(0)
	v_add_f32_e32 v14, v14, v19
.LBB8_33:                               ;   in Loop: Header=BB8_27 Depth=3
	s_or_b64 exec, exec, s[44:45]
	v_cmp_ne_u32_e32 vcc, s48, v18
	s_or_b64 s[44:45], s[34:35], vcc
	s_and_saveexec_b64 s[46:47], s[44:45]
	s_xor_b64 s[44:45], exec, s[46:47]
	s_cbranch_execz .LBB8_37
; %bb.34:                               ;   in Loop: Header=BB8_27 Depth=3
	s_add_i32 s46, s50, 0xfffffe01
	v_cmp_le_i32_e32 vcc, s46, v15
	s_and_saveexec_b64 s[46:47], vcc
	s_cbranch_execz .LBB8_36
; %bb.35:                               ;   in Loop: Header=BB8_27 Depth=3
	flat_load_dword v19, v[6:7] offset:4
	v_mov_b32_e32 v20, s49
	ds_read_b32 v20, v20 offset:4
	s_waitcnt vmcnt(0) lgkmcnt(0)
	v_fmac_f32_e32 v14, v19, v20
.LBB8_36:                               ;   in Loop: Header=BB8_27 Depth=3
	s_or_b64 exec, exec, s[46:47]
.LBB8_37:                               ;   in Loop: Header=BB8_27 Depth=3
	s_andn2_saveexec_b64 s[44:45], s[44:45]
	s_cbranch_execz .LBB8_39
; %bb.38:                               ;   in Loop: Header=BB8_27 Depth=3
	v_mov_b32_e32 v19, s49
	ds_read_b32 v19, v19 offset:4
	s_waitcnt lgkmcnt(0)
	v_add_f32_e32 v14, v14, v19
.LBB8_39:                               ;   in Loop: Header=BB8_27 Depth=3
	s_or_b64 exec, exec, s[44:45]
	v_cmp_ne_u32_e32 vcc, s48, v17
	s_or_b64 s[44:45], s[34:35], vcc
	s_and_saveexec_b64 s[46:47], s[44:45]
	s_xor_b64 s[44:45], exec, s[46:47]
	s_cbranch_execz .LBB8_43
; %bb.40:                               ;   in Loop: Header=BB8_27 Depth=3
	s_add_i32 s46, s50, 0xfffffe02
	v_cmp_le_i32_e32 vcc, s46, v15
	s_and_saveexec_b64 s[46:47], vcc
	s_cbranch_execz .LBB8_42
; %bb.41:                               ;   in Loop: Header=BB8_27 Depth=3
	flat_load_dword v19, v[6:7] offset:8
	v_mov_b32_e32 v20, s49
	ds_read_b32 v20, v20 offset:8
	s_waitcnt vmcnt(0) lgkmcnt(0)
	v_fmac_f32_e32 v14, v19, v20
.LBB8_42:                               ;   in Loop: Header=BB8_27 Depth=3
	s_or_b64 exec, exec, s[46:47]
.LBB8_43:                               ;   in Loop: Header=BB8_27 Depth=3
	s_andn2_saveexec_b64 s[44:45], s[44:45]
	s_cbranch_execz .LBB8_45
; %bb.44:                               ;   in Loop: Header=BB8_27 Depth=3
	v_mov_b32_e32 v19, s49
	ds_read_b32 v19, v19 offset:8
	s_waitcnt lgkmcnt(0)
	v_add_f32_e32 v14, v14, v19
.LBB8_45:                               ;   in Loop: Header=BB8_27 Depth=3
	s_or_b64 exec, exec, s[44:45]
	v_cmp_ne_u32_e32 vcc, s48, v16
	s_or_b64 s[44:45], s[34:35], vcc
	s_and_saveexec_b64 s[46:47], s[44:45]
	s_xor_b64 s[44:45], exec, s[46:47]
	s_cbranch_execz .LBB8_49
; %bb.46:                               ;   in Loop: Header=BB8_27 Depth=3
	s_addk_i32 s50, 0xfe03
	v_cmp_le_i32_e32 vcc, s50, v15
	s_and_saveexec_b64 s[46:47], vcc
	s_cbranch_execz .LBB8_48
; %bb.47:                               ;   in Loop: Header=BB8_27 Depth=3
	flat_load_dword v19, v[6:7] offset:12
	v_mov_b32_e32 v20, s49
	ds_read_b32 v20, v20 offset:12
	s_waitcnt vmcnt(0) lgkmcnt(0)
	v_fmac_f32_e32 v14, v19, v20
.LBB8_48:                               ;   in Loop: Header=BB8_27 Depth=3
	s_or_b64 exec, exec, s[46:47]
.LBB8_49:                               ;   in Loop: Header=BB8_27 Depth=3
	s_andn2_saveexec_b64 s[44:45], s[44:45]
	s_cbranch_execz .LBB8_26
; %bb.50:                               ;   in Loop: Header=BB8_27 Depth=3
	v_mov_b32_e32 v19, s49
	ds_read_b32 v19, v19 offset:12
	s_waitcnt lgkmcnt(0)
	v_add_f32_e32 v14, v14, v19
	s_branch .LBB8_26
.LBB8_51:                               ;   in Loop: Header=BB8_5 Depth=1
	s_or_b64 exec, exec, s[38:39]
.LBB8_52:                               ;   in Loop: Header=BB8_5 Depth=1
	s_and_saveexec_b64 s[38:39], s[0:1]
	s_cbranch_execz .LBB8_4
; %bb.53:                               ;   in Loop: Header=BB8_5 Depth=1
	ds_read_b32 v12, v1
	v_mad_u64_u32 v[4:5], s[0:1], s8, v11, 0
	v_mov_b32_e32 v2, v5
	v_mad_u64_u32 v[6:7], s[0:1], s9, v11, v[2:3]
	v_mov_b32_e32 v5, v6
	v_lshl_add_u64 v[4:5], v[4:5], 2, s[16:17]
	s_waitcnt lgkmcnt(0)
	flat_store_dword v[4:5], v12
	s_branch .LBB8_4
.LBB8_54:
	s_mov_b64 s[0:1], 0
.LBB8_55:
	s_andn2_b64 vcc, exec, s[0:1]
	s_cbranch_vccnz .LBB8_108
; %bb.56:
	s_andn2_b64 vcc, exec, s[24:25]
	s_cbranch_vccnz .LBB8_108
; %bb.57:
	s_ashr_i32 s7, s6, 31
	s_lshl_b64 s[0:1], s[12:13], 2
	s_lshl_b64 s[2:3], s[6:7], 2
	s_add_u32 s4, s0, s2
	s_addc_u32 s7, s1, s3
	s_add_u32 s28, s20, s4
	s_addc_u32 s29, s21, s7
	s_lshl_b64 s[30:31], s[12:13], 11
	s_lshl_b64 s[34:35], s[12:13], 3
	s_add_u32 s36, s30, 0x800
	s_addc_u32 s37, s31, 0
	s_add_u32 s0, s0, -4
	s_addc_u32 s4, s1, -1
	s_add_u32 s38, s20, s2
	s_addc_u32 s39, s21, s3
	v_mov_b64_e32 v[2:3], s[38:39]
	v_mad_u64_u32 v[2:3], s[0:1], s0, v0, v[2:3]
	v_mov_b32_e32 v4, v3
	v_mad_u64_u32 v[4:5], s[0:1], s4, v0, v[4:5]
	v_or_b32_e32 v10, 0x200, v0
	v_mov_b32_e32 v3, v4
	v_mad_u64_u32 v[4:5], s[0:1], s12, v10, 0
	v_mov_b32_e32 v6, v5
	v_mad_u64_u32 v[6:7], s[0:1], s13, v10, v[6:7]
	s_add_u32 s0, s38, s22
	s_addc_u32 s1, s39, s23
	v_mov_b32_e32 v1, 0x800
	v_mov_b32_e32 v5, v6
	s_add_u32 s40, s30, 0xfffff800
	v_lshl_or_b32 v1, v0, 2, v1
	v_lshl_add_u64 v[4:5], v[4:5], 2, s[0:1]
	s_addc_u32 s41, s31, -1
	s_mov_b32 s4, 0
	s_xor_b64 s[42:43], s[18:19], -1
	s_branch .LBB8_59
.LBB8_58:                               ;   in Loop: Header=BB8_59 Depth=1
	s_or_b64 exec, exec, s[44:45]
	s_add_u32 s28, s28, s30
	s_addc_u32 s29, s29, s31
	s_add_u32 s38, s38, s30
	v_lshl_add_u64 v[2:3], v[2:3], 0, s[30:31]
	s_addc_u32 s39, s39, s31
	v_lshl_add_u64 v[4:5], v[4:5], 0, s[36:37]
	v_add_u32_e32 v10, 0x200, v10
	s_and_b64 vcc, exec, s[2:3]
	s_mov_b32 s4, s7
	s_waitcnt lgkmcnt(0)
	s_barrier
	s_cbranch_vccnz .LBB8_108
.LBB8_59:                               ; =>This Loop Header: Depth=1
                                        ;     Child Loop BB8_63 Depth 2
                                        ;     Child Loop BB8_78 Depth 2
                                        ;       Child Loop BB8_81 Depth 3
	v_add_u32_e32 v11, s4, v0
	v_cmp_le_i32_e32 vcc, s5, v11
	v_cmp_gt_i32_e64 s[0:1], s5, v11
	s_and_saveexec_b64 s[2:3], s[0:1]
	s_cbranch_execz .LBB8_61
; %bb.60:                               ;   in Loop: Header=BB8_59 Depth=1
	v_mad_u64_u32 v[6:7], s[44:45], s8, v11, 0
	v_mov_b32_e32 v8, v7
	v_mad_u64_u32 v[8:9], s[44:45], s9, v11, v[8:9]
	v_mov_b32_e32 v7, v8
	v_lshl_add_u64 v[6:7], v[6:7], 2, s[16:17]
	flat_load_dword v6, v[6:7]
	s_waitcnt vmcnt(0) lgkmcnt(0)
	ds_write_b32 v1, v6
.LBB8_61:                               ;   in Loop: Header=BB8_59 Depth=1
	s_or_b64 exec, exec, s[2:3]
	v_subrev_u32_e32 v8, s6, v11
	s_mov_b32 s33, 0
	s_movk_i32 s7, 0x800
	s_xor_b64 s[44:45], vcc, -1
	s_mov_b64 s[48:49], s[38:39]
	v_mov_b64_e32 v[6:7], v[2:3]
	s_mov_b64 s[46:47], s[28:29]
	s_waitcnt lgkmcnt(0)
	s_barrier
	s_branch .LBB8_63
.LBB8_62:                               ;   in Loop: Header=BB8_63 Depth=2
                                        ; implicit-def: $sgpr33
                                        ; implicit-def: $sgpr7
                                        ; implicit-def: $sgpr46_sgpr47
                                        ; implicit-def: $vgpr6_vgpr7
                                        ; implicit-def: $sgpr48_sgpr49
	s_cbranch_execnz .LBB8_74
.LBB8_63:                               ;   Parent Loop BB8_59 Depth=1
                                        ; =>  This Inner Loop Header: Depth=2
	s_add_i32 s50, s4, s33
	s_cmp_ge_i32 s50, s5
	s_cbranch_scc1 .LBB8_62
; %bb.64:                               ;   in Loop: Header=BB8_63 Depth=2
	v_cmp_eq_u32_e32 vcc, s33, v0
	s_and_b64 s[52:53], s[42:43], vcc
	s_and_saveexec_b64 s[2:3], s[52:53]
	s_cbranch_execz .LBB8_66
; %bb.65:                               ;   in Loop: Header=BB8_63 Depth=2
	s_add_u32 s52, s48, s22
	s_addc_u32 s53, s49, s23
	v_mov_b64_e32 v[12:13], s[52:53]
	flat_load_dword v9, v[12:13]
	ds_read_b32 v12, v1
	s_waitcnt vmcnt(0) lgkmcnt(0)
	v_div_scale_f32 v13, s[52:53], v9, v9, v12
	v_rcp_f32_e32 v14, v13
	v_div_scale_f32 v15, vcc, v12, v9, v12
	v_fma_f32 v16, -v13, v14, 1.0
	v_fmac_f32_e32 v14, v16, v14
	v_mul_f32_e32 v16, v15, v14
	v_fma_f32 v17, -v13, v16, v15
	v_fmac_f32_e32 v16, v17, v14
	v_fma_f32 v13, -v13, v16, v15
	v_div_fmas_f32 v13, v13, v14, v16
	v_div_fixup_f32 v9, v13, v9, v12
	ds_write_b32 v1, v9
.LBB8_66:                               ;   in Loop: Header=BB8_63 Depth=2
	s_or_b64 exec, exec, s[2:3]
	v_cmp_lt_u32_e32 vcc, s33, v0
	v_cmp_ge_i32_e64 s[2:3], s50, v8
	s_and_b64 s[52:53], s[44:45], vcc
	s_and_b64 s[52:53], s[52:53], s[2:3]
	s_waitcnt lgkmcnt(0)
	s_barrier
	s_and_saveexec_b64 s[2:3], s[52:53]
	s_cbranch_execz .LBB8_68
; %bb.67:                               ;   in Loop: Header=BB8_63 Depth=2
	v_lshl_add_u64 v[12:13], v[6:7], 0, s[22:23]
	flat_load_dword v9, v[12:13]
	v_mov_b32_e32 v12, s7
	ds_read_b32 v12, v12
	ds_read_b32 v13, v1
	s_waitcnt vmcnt(0) lgkmcnt(0)
	v_fma_f32 v9, -v9, v12, v13
	ds_write_b32 v1, v9
.LBB8_68:                               ;   in Loop: Header=BB8_63 Depth=2
	s_or_b64 exec, exec, s[2:3]
	s_add_i32 s50, s50, 1
	s_cmp_ge_i32 s50, s5
	s_cbranch_scc1 .LBB8_62
; %bb.69:                               ;   in Loop: Header=BB8_63 Depth=2
	s_add_i32 s33, s33, 1
	v_cmp_eq_u32_e32 vcc, s33, v0
	s_and_b64 s[52:53], s[42:43], vcc
	s_and_saveexec_b64 s[2:3], s[52:53]
	s_cbranch_execz .LBB8_71
; %bb.70:                               ;   in Loop: Header=BB8_63 Depth=2
	s_add_u32 s52, s46, s22
	s_addc_u32 s53, s47, s23
	v_mov_b64_e32 v[12:13], s[52:53]
	flat_load_dword v9, v[12:13]
	ds_read_b32 v12, v1
	s_waitcnt vmcnt(0) lgkmcnt(0)
	v_div_scale_f32 v13, s[52:53], v9, v9, v12
	v_rcp_f32_e32 v14, v13
	v_div_scale_f32 v15, vcc, v12, v9, v12
	v_fma_f32 v16, -v13, v14, 1.0
	v_fmac_f32_e32 v14, v16, v14
	v_mul_f32_e32 v16, v15, v14
	v_fma_f32 v17, -v13, v16, v15
	v_fmac_f32_e32 v16, v17, v14
	v_fma_f32 v13, -v13, v16, v15
	v_div_fmas_f32 v13, v13, v14, v16
	v_div_fixup_f32 v9, v13, v9, v12
	ds_write_b32 v1, v9
.LBB8_71:                               ;   in Loop: Header=BB8_63 Depth=2
	s_or_b64 exec, exec, s[2:3]
	v_cmp_lt_u32_e32 vcc, s33, v0
	v_cmp_ge_i32_e64 s[2:3], s50, v8
	s_and_b64 s[50:51], s[44:45], vcc
	s_and_b64 s[50:51], s[50:51], s[2:3]
	s_waitcnt lgkmcnt(0)
	s_barrier
	s_and_saveexec_b64 s[2:3], s[50:51]
	s_cbranch_execz .LBB8_73
; %bb.72:                               ;   in Loop: Header=BB8_63 Depth=2
	v_lshl_add_u64 v[12:13], v[6:7], 0, s[22:23]
	flat_load_dword v9, v[12:13] offset:4
	v_mov_b32_e32 v12, s7
	ds_read_b32 v12, v12 offset:4
	ds_read_b32 v13, v1
	s_waitcnt vmcnt(0) lgkmcnt(0)
	v_fma_f32 v9, -v9, v12, v13
	ds_write_b32 v1, v9
.LBB8_73:                               ;   in Loop: Header=BB8_63 Depth=2
	s_or_b64 exec, exec, s[2:3]
	s_add_i32 s7, s7, 8
	s_add_u32 s46, s46, s34
	s_addc_u32 s47, s47, s35
	s_add_u32 s48, s48, s34
	s_addc_u32 s49, s49, s35
	s_add_i32 s33, s33, 1
	s_cmpk_eq_i32 s33, 0x200
	v_lshl_add_u64 v[6:7], v[6:7], 0, 8
	s_cselect_b64 s[2:3], -1, 0
	s_and_b64 vcc, exec, s[2:3]
	s_cbranch_vccz .LBB8_63
.LBB8_74:                               ;   in Loop: Header=BB8_59 Depth=1
	s_add_i32 s7, s4, 0x200
	s_cmp_ge_i32 s7, s5
	s_cselect_b64 s[2:3], -1, 0
	s_and_b64 vcc, exec, s[2:3]
	s_waitcnt lgkmcnt(0)
	s_barrier
	s_cbranch_vccnz .LBB8_106
; %bb.75:                               ;   in Loop: Header=BB8_59 Depth=1
	v_mad_i64_i32 v[6:7], s[44:45], v10, -4, v[4:5]
	s_mov_b64 s[44:45], 0
	v_mov_b32_e32 v12, v0
	s_mov_b32 s33, s7
                                        ; implicit-def: $sgpr46_sgpr47
	s_branch .LBB8_78
.LBB8_76:                               ;   in Loop: Header=BB8_78 Depth=2
	v_mad_u64_u32 v[8:9], s[50:51], s8, v13, 0
	v_mov_b32_e32 v16, v9
	v_mad_u64_u32 v[16:17], s[50:51], s9, v13, v[16:17]
	v_mov_b32_e32 v9, v16
	v_lshl_add_u64 v[8:9], v[8:9], 2, s[16:17]
	flat_load_dword v13, v[8:9]
	s_addk_i32 s33, 0x200
	s_cmp_ge_i32 s33, s5
	s_cselect_b64 s[50:51], -1, 0
	s_andn2_b64 s[46:47], s[46:47], exec
	s_and_b64 s[50:51], s[50:51], exec
	v_lshl_add_u64 v[6:7], v[6:7], 0, s[40:41]
	s_or_b64 s[46:47], s[46:47], s[50:51]
	s_waitcnt vmcnt(0) lgkmcnt(0)
	v_sub_f32_e32 v13, v13, v14
	flat_store_dword v[8:9], v13
.LBB8_77:                               ;   in Loop: Header=BB8_78 Depth=2
	s_or_b64 exec, exec, s[48:49]
	s_and_b64 s[48:49], exec, s[46:47]
	s_or_b64 s[44:45], s[48:49], s[44:45]
	s_andn2_b64 exec, exec, s[44:45]
	s_cbranch_execz .LBB8_105
.LBB8_78:                               ;   Parent Loop BB8_59 Depth=1
                                        ; =>  This Loop Header: Depth=2
                                        ;       Child Loop BB8_81 Depth 3
	v_add_u32_e32 v13, s33, v0
	v_cmp_gt_i32_e32 vcc, s5, v13
	s_or_b64 s[46:47], s[46:47], exec
	s_and_saveexec_b64 s[48:49], vcc
	s_cbranch_execz .LBB8_77
; %bb.79:                               ;   in Loop: Header=BB8_78 Depth=2
	v_subrev_u32_e32 v15, s6, v13
	v_add_u32_e32 v16, 0x1fd, v12
	v_add_u32_e32 v17, 0x1fe, v12
	;; [unrolled: 1-line block ×4, first 2 shown]
	v_mov_b32_e32 v14, 0
	s_mov_b32 s54, 0
	s_movk_i32 s55, 0x800
	v_mov_b64_e32 v[8:9], v[6:7]
	s_branch .LBB8_81
.LBB8_80:                               ;   in Loop: Header=BB8_81 Depth=3
	s_or_b64 exec, exec, s[50:51]
	s_add_i32 s54, s54, 4
	s_add_i32 s55, s55, 16
	s_cmpk_eq_i32 s54, 0x200
	v_lshl_add_u64 v[8:9], v[8:9], 0, 16
	s_cbranch_scc1 .LBB8_76
.LBB8_81:                               ;   Parent Loop BB8_59 Depth=1
                                        ;     Parent Loop BB8_78 Depth=2
                                        ; =>    This Inner Loop Header: Depth=3
	v_cmp_ne_u32_e32 vcc, s54, v12
	s_add_i32 s56, s4, s54
	s_or_b64 s[50:51], s[42:43], vcc
	s_and_saveexec_b64 s[52:53], s[50:51]
	s_xor_b64 s[50:51], exec, s[52:53]
	s_cbranch_execz .LBB8_85
; %bb.82:                               ;   in Loop: Header=BB8_81 Depth=3
	s_cmp_lt_i32 s56, s5
	s_cselect_b64 s[52:53], -1, 0
	v_cmp_ge_i32_e32 vcc, s56, v15
	s_and_b64 s[58:59], s[52:53], vcc
	s_and_saveexec_b64 s[52:53], s[58:59]
	s_cbranch_execz .LBB8_84
; %bb.83:                               ;   in Loop: Header=BB8_81 Depth=3
	flat_load_dword v19, v[8:9]
	v_mov_b32_e32 v20, s55
	ds_read_b32 v20, v20
	s_waitcnt vmcnt(0) lgkmcnt(0)
	v_fmac_f32_e32 v14, v19, v20
.LBB8_84:                               ;   in Loop: Header=BB8_81 Depth=3
	s_or_b64 exec, exec, s[52:53]
.LBB8_85:                               ;   in Loop: Header=BB8_81 Depth=3
	s_andn2_saveexec_b64 s[50:51], s[50:51]
	s_cbranch_execz .LBB8_87
; %bb.86:                               ;   in Loop: Header=BB8_81 Depth=3
	v_mov_b32_e32 v19, s55
	ds_read_b32 v19, v19
	s_waitcnt lgkmcnt(0)
	v_add_f32_e32 v14, v14, v19
.LBB8_87:                               ;   in Loop: Header=BB8_81 Depth=3
	s_or_b64 exec, exec, s[50:51]
	v_cmp_ne_u32_e32 vcc, s54, v18
	s_or_b64 s[50:51], s[42:43], vcc
	s_and_saveexec_b64 s[52:53], s[50:51]
	s_xor_b64 s[50:51], exec, s[52:53]
	s_cbranch_execz .LBB8_91
; %bb.88:                               ;   in Loop: Header=BB8_81 Depth=3
	s_add_i32 s57, s56, 1
	s_cmp_lt_i32 s57, s5
	s_cselect_b64 s[52:53], -1, 0
	v_cmp_ge_i32_e32 vcc, s57, v15
	s_and_b64 s[58:59], s[52:53], vcc
	s_and_saveexec_b64 s[52:53], s[58:59]
	s_cbranch_execz .LBB8_90
; %bb.89:                               ;   in Loop: Header=BB8_81 Depth=3
	flat_load_dword v19, v[8:9] offset:4
	v_mov_b32_e32 v20, s55
	ds_read_b32 v20, v20 offset:4
	s_waitcnt vmcnt(0) lgkmcnt(0)
	v_fmac_f32_e32 v14, v19, v20
.LBB8_90:                               ;   in Loop: Header=BB8_81 Depth=3
	s_or_b64 exec, exec, s[52:53]
.LBB8_91:                               ;   in Loop: Header=BB8_81 Depth=3
	s_andn2_saveexec_b64 s[50:51], s[50:51]
	s_cbranch_execz .LBB8_93
; %bb.92:                               ;   in Loop: Header=BB8_81 Depth=3
	v_mov_b32_e32 v19, s55
	ds_read_b32 v19, v19 offset:4
	s_waitcnt lgkmcnt(0)
	v_add_f32_e32 v14, v14, v19
.LBB8_93:                               ;   in Loop: Header=BB8_81 Depth=3
	s_or_b64 exec, exec, s[50:51]
	v_cmp_ne_u32_e32 vcc, s54, v17
	s_or_b64 s[50:51], s[42:43], vcc
	s_and_saveexec_b64 s[52:53], s[50:51]
	s_xor_b64 s[50:51], exec, s[52:53]
	s_cbranch_execz .LBB8_97
; %bb.94:                               ;   in Loop: Header=BB8_81 Depth=3
	s_add_i32 s57, s56, 2
	s_cmp_lt_i32 s57, s5
	s_cselect_b64 s[52:53], -1, 0
	v_cmp_ge_i32_e32 vcc, s57, v15
	s_and_b64 s[58:59], s[52:53], vcc
	s_and_saveexec_b64 s[52:53], s[58:59]
	s_cbranch_execz .LBB8_96
; %bb.95:                               ;   in Loop: Header=BB8_81 Depth=3
	flat_load_dword v19, v[8:9] offset:8
	v_mov_b32_e32 v20, s55
	ds_read_b32 v20, v20 offset:8
	s_waitcnt vmcnt(0) lgkmcnt(0)
	v_fmac_f32_e32 v14, v19, v20
.LBB8_96:                               ;   in Loop: Header=BB8_81 Depth=3
	s_or_b64 exec, exec, s[52:53]
.LBB8_97:                               ;   in Loop: Header=BB8_81 Depth=3
	s_andn2_saveexec_b64 s[50:51], s[50:51]
	s_cbranch_execz .LBB8_99
; %bb.98:                               ;   in Loop: Header=BB8_81 Depth=3
	v_mov_b32_e32 v19, s55
	ds_read_b32 v19, v19 offset:8
	s_waitcnt lgkmcnt(0)
	v_add_f32_e32 v14, v14, v19
.LBB8_99:                               ;   in Loop: Header=BB8_81 Depth=3
	s_or_b64 exec, exec, s[50:51]
	v_cmp_ne_u32_e32 vcc, s54, v16
	s_or_b64 s[50:51], s[42:43], vcc
	s_and_saveexec_b64 s[52:53], s[50:51]
	s_xor_b64 s[50:51], exec, s[52:53]
	s_cbranch_execz .LBB8_103
; %bb.100:                              ;   in Loop: Header=BB8_81 Depth=3
	s_add_i32 s56, s56, 3
	s_cmp_lt_i32 s56, s5
	s_cselect_b64 s[52:53], -1, 0
	v_cmp_ge_i32_e32 vcc, s56, v15
	s_and_b64 s[56:57], s[52:53], vcc
	s_and_saveexec_b64 s[52:53], s[56:57]
	s_cbranch_execz .LBB8_102
; %bb.101:                              ;   in Loop: Header=BB8_81 Depth=3
	flat_load_dword v19, v[8:9] offset:12
	v_mov_b32_e32 v20, s55
	ds_read_b32 v20, v20 offset:12
	s_waitcnt vmcnt(0) lgkmcnt(0)
	v_fmac_f32_e32 v14, v19, v20
.LBB8_102:                              ;   in Loop: Header=BB8_81 Depth=3
	s_or_b64 exec, exec, s[52:53]
.LBB8_103:                              ;   in Loop: Header=BB8_81 Depth=3
	s_andn2_saveexec_b64 s[50:51], s[50:51]
	s_cbranch_execz .LBB8_80
; %bb.104:                              ;   in Loop: Header=BB8_81 Depth=3
	v_mov_b32_e32 v19, s55
	ds_read_b32 v19, v19 offset:12
	s_waitcnt lgkmcnt(0)
	v_add_f32_e32 v14, v14, v19
	s_branch .LBB8_80
.LBB8_105:                              ;   in Loop: Header=BB8_59 Depth=1
	s_or_b64 exec, exec, s[44:45]
.LBB8_106:                              ;   in Loop: Header=BB8_59 Depth=1
	s_and_saveexec_b64 s[44:45], s[0:1]
	s_cbranch_execz .LBB8_58
; %bb.107:                              ;   in Loop: Header=BB8_59 Depth=1
	ds_read_b32 v12, v1
	v_mad_u64_u32 v[6:7], s[0:1], s8, v11, 0
	v_mov_b32_e32 v8, v7
	v_mad_u64_u32 v[8:9], s[0:1], s9, v11, v[8:9]
	v_mov_b32_e32 v7, v8
	v_lshl_add_u64 v[6:7], v[6:7], 2, s[16:17]
	s_waitcnt lgkmcnt(0)
	flat_store_dword v[6:7], v12
	s_branch .LBB8_58
.LBB8_108:
	s_mov_b64 s[0:1], 0
.LBB8_109:
	s_andn2_b64 vcc, exec, s[0:1]
	s_cbranch_vccnz .LBB8_183
; %bb.110:
	s_mov_b64 s[0:1], -1
	s_and_b64 vcc, exec, s[26:27]
	s_cbranch_vccz .LBB8_147
; %bb.111:
	s_andn2_b64 vcc, exec, s[24:25]
	s_cbranch_vccnz .LBB8_146
; %bb.112:
	s_lshl_b64 s[26:27], s[12:13], 11
	s_lshl_b64 s[28:29], s[12:13], 2
	s_add_u32 s30, s20, s28
	s_addc_u32 s31, s21, s29
	s_lshl_b64 s[0:1], s[12:13], 3
	s_add_u32 s4, s0, -8
	v_lshlrev_b32_e32 v1, 2, v0
	v_or_b32_e32 v2, 0x200, v0
	s_addc_u32 s7, s1, -1
	s_mov_b32 s33, 0
	s_mov_b64 s[34:35], -1
	s_mov_b64 s[36:37], 0
	s_xor_b64 s[38:39], s[18:19], -1
	v_mov_b32_e32 v5, 0
	s_mov_b64 s[40:41], 0
	s_mov_b64 s[42:43], s[14:15]
	s_branch .LBB8_114
.LBB8_113:                              ;   in Loop: Header=BB8_114 Depth=1
	s_or_b64 exec, exec, s[44:45]
	s_add_u32 s42, s42, s26
	s_addc_u32 s43, s43, s27
	s_add_u32 s34, s34, 0xfffffe00
	s_addc_u32 s35, s35, -1
	s_add_u32 s40, s40, s26
	s_addc_u32 s41, s41, s27
	s_add_u32 s36, s36, 0xfffffe00
	v_add_u32_e32 v2, 0x200, v2
	s_addc_u32 s37, s37, -1
	s_and_b64 vcc, exec, s[2:3]
	s_mov_b32 s33, s60
	s_waitcnt lgkmcnt(0)
	s_barrier
	s_cbranch_vccnz .LBB8_146
.LBB8_114:                              ; =>This Loop Header: Depth=1
                                        ;     Child Loop BB8_118 Depth 2
                                        ;     Child Loop BB8_128 Depth 2
                                        ;       Child Loop BB8_131 Depth 3
	v_add_u32_e32 v10, s33, v0
	v_cmp_le_i32_e32 vcc, s5, v10
	v_cmp_gt_i32_e64 s[0:1], s5, v10
	s_and_saveexec_b64 s[2:3], s[0:1]
	s_cbranch_execz .LBB8_116
; %bb.115:                              ;   in Loop: Header=BB8_114 Depth=1
	v_mad_u64_u32 v[6:7], s[44:45], s8, v10, 0
	v_mov_b32_e32 v4, v7
	v_mad_u64_u32 v[8:9], s[44:45], s9, v10, v[4:5]
	v_mov_b32_e32 v7, v8
	v_lshl_add_u64 v[6:7], v[6:7], 2, s[16:17]
	flat_load_dword v3, v[6:7]
	s_waitcnt vmcnt(0) lgkmcnt(0)
	ds_write_b32 v1, v3
.LBB8_116:                              ;   in Loop: Header=BB8_114 Depth=1
	s_or_b64 exec, exec, s[2:3]
	v_subrev_u32_e32 v3, s6, v10
	s_mov_b32 s48, 0
	s_xor_b64 s[44:45], vcc, -1
	s_mov_b64 s[46:47], s[42:43]
	v_mov_b32_e32 v4, v0
	s_mov_b32 s49, 0
	s_waitcnt lgkmcnt(0)
	s_barrier
	s_branch .LBB8_118
.LBB8_117:                              ;   in Loop: Header=BB8_118 Depth=2
	s_or_b64 exec, exec, s[2:3]
	s_add_i32 s49, s49, 1
	s_add_i32 s48, s48, 4
	s_add_u32 s46, s46, s28
	s_addc_u32 s47, s47, s29
	s_cmpk_eq_i32 s49, 0x200
	v_add_u32_e32 v4, -1, v4
	s_cselect_b64 s[2:3], -1, 0
	s_and_b64 vcc, exec, s[2:3]
	s_cbranch_vccnz .LBB8_124
.LBB8_118:                              ;   Parent Loop BB8_114 Depth=1
                                        ; =>  This Inner Loop Header: Depth=2
	s_add_i32 s50, s33, s49
	s_cmp_ge_i32 s50, s5
	s_cbranch_scc1 .LBB8_123
; %bb.119:                              ;   in Loop: Header=BB8_118 Depth=2
	v_cmp_eq_u32_e32 vcc, s49, v0
	s_and_b64 s[52:53], s[38:39], vcc
	s_and_saveexec_b64 s[2:3], s[52:53]
	s_cbranch_execz .LBB8_121
; %bb.120:                              ;   in Loop: Header=BB8_118 Depth=2
	v_mov_b64_e32 v[6:7], s[46:47]
	flat_load_dword v6, v[6:7]
	ds_read_b32 v7, v1
	s_waitcnt vmcnt(0) lgkmcnt(0)
	v_div_scale_f32 v8, s[52:53], v6, v6, v7
	v_rcp_f32_e32 v9, v8
	v_div_scale_f32 v11, vcc, v7, v6, v7
	v_fma_f32 v12, -v8, v9, 1.0
	v_fmac_f32_e32 v9, v12, v9
	v_mul_f32_e32 v12, v11, v9
	v_fma_f32 v13, -v8, v12, v11
	v_fmac_f32_e32 v12, v13, v9
	v_fma_f32 v8, -v8, v12, v11
	v_div_fmas_f32 v8, v8, v9, v12
	v_div_fixup_f32 v6, v8, v6, v7
	ds_write_b32 v1, v6
.LBB8_121:                              ;   in Loop: Header=BB8_118 Depth=2
	s_or_b64 exec, exec, s[2:3]
	v_cmp_lt_u32_e32 vcc, s49, v0
	v_cmp_ge_i32_e64 s[2:3], s50, v3
	s_and_b64 s[50:51], s[44:45], vcc
	s_and_b64 s[50:51], s[50:51], s[2:3]
	s_waitcnt lgkmcnt(0)
	s_barrier
	s_and_saveexec_b64 s[2:3], s[50:51]
	s_cbranch_execz .LBB8_117
; %bb.122:                              ;   in Loop: Header=BB8_118 Depth=2
	v_lshl_add_u64 v[6:7], v[4:5], 2, s[46:47]
	flat_load_dword v6, v[6:7]
	v_mov_b32_e32 v7, s48
	ds_read_b32 v7, v7
	ds_read_b32 v8, v1
	s_waitcnt vmcnt(0) lgkmcnt(0)
	v_fma_f32 v6, -v6, v7, v8
	ds_write_b32 v1, v6
	s_branch .LBB8_117
.LBB8_123:                              ;   in Loop: Header=BB8_118 Depth=2
                                        ; implicit-def: $sgpr49
                                        ; implicit-def: $sgpr48
                                        ; implicit-def: $sgpr46_sgpr47
	s_cbranch_execz .LBB8_118
.LBB8_124:                              ;   in Loop: Header=BB8_114 Depth=1
	s_add_i32 s60, s33, 0x200
	s_cmp_ge_i32 s60, s5
	s_cselect_b64 s[2:3], -1, 0
	s_and_b64 vcc, exec, s[2:3]
	s_waitcnt lgkmcnt(0)
	s_barrier
	s_cbranch_vccnz .LBB8_144
; %bb.125:                              ;   in Loop: Header=BB8_114 Depth=1
	v_ashrrev_i32_e32 v3, 31, v2
	v_lshl_add_u64 v[6:7], s[34:35], 0, v[2:3]
	v_lshl_add_u64 v[8:9], s[36:37], 0, v[2:3]
	v_lshlrev_b64 v[6:7], 2, v[6:7]
	v_lshlrev_b64 v[8:9], 2, v[8:9]
	s_mov_b64 s[44:45], 0
	s_mov_b64 s[46:47], s[40:41]
	v_mov_b32_e32 v3, v0
	s_mov_b32 s61, s60
                                        ; implicit-def: $sgpr48_sgpr49
	s_branch .LBB8_128
.LBB8_126:                              ;   in Loop: Header=BB8_128 Depth=2
	v_mad_u64_u32 v[12:13], s[52:53], s8, v11, 0
	v_mov_b32_e32 v14, v13
	v_mad_u64_u32 v[14:15], s[52:53], s9, v11, v[14:15]
	v_mov_b32_e32 v13, v14
	v_lshl_add_u64 v[12:13], v[12:13], 2, s[16:17]
	flat_load_dword v11, v[12:13]
	s_addk_i32 s61, 0x200
	s_add_u32 s46, s46, 0x800
	s_addc_u32 s47, s47, 0
	s_cmp_ge_i32 s61, s5
	s_cselect_b64 s[52:53], -1, 0
	s_andn2_b64 s[48:49], s[48:49], exec
	s_and_b64 s[52:53], s[52:53], exec
	s_or_b64 s[48:49], s[48:49], s[52:53]
	s_waitcnt vmcnt(0) lgkmcnt(0)
	v_sub_f32_e32 v4, v11, v4
	flat_store_dword v[12:13], v4
.LBB8_127:                              ;   in Loop: Header=BB8_128 Depth=2
	s_or_b64 exec, exec, s[50:51]
	s_and_b64 s[50:51], exec, s[48:49]
	s_or_b64 s[44:45], s[50:51], s[44:45]
	s_andn2_b64 exec, exec, s[44:45]
	s_cbranch_execz .LBB8_143
.LBB8_128:                              ;   Parent Loop BB8_114 Depth=1
                                        ; =>  This Loop Header: Depth=2
                                        ;       Child Loop BB8_131 Depth 3
	v_add_u32_e32 v11, s61, v0
	v_cmp_gt_i32_e32 vcc, s5, v11
	s_or_b64 s[48:49], s[48:49], exec
	s_and_saveexec_b64 s[50:51], vcc
	s_cbranch_execz .LBB8_127
; %bb.129:                              ;   in Loop: Header=BB8_128 Depth=2
	v_subrev_u32_e32 v12, s6, v11
	v_add_u32_e32 v13, 0x1ff, v3
	v_add_u32_e32 v3, 0x200, v3
	v_mov_b32_e32 v4, 0
	s_mov_b32 s62, 0
	s_mov_b64 s[52:53], s[20:21]
	s_mov_b64 s[54:55], s[30:31]
	s_mov_b32 s63, 0
	s_branch .LBB8_131
.LBB8_130:                              ;   in Loop: Header=BB8_131 Depth=3
	s_or_b64 exec, exec, s[56:57]
	s_add_i32 s63, s63, 2
	s_add_u32 s54, s54, s4
	s_addc_u32 s55, s55, s7
	s_add_i32 s62, s62, 8
	s_add_u32 s52, s52, s4
	s_addc_u32 s53, s53, s7
	s_cmpk_eq_i32 s63, 0x200
	s_cbranch_scc1 .LBB8_126
.LBB8_131:                              ;   Parent Loop BB8_114 Depth=1
                                        ;     Parent Loop BB8_128 Depth=2
                                        ; =>    This Inner Loop Header: Depth=3
	v_cmp_ne_u32_e32 vcc, s63, v3
	s_add_i32 s64, s33, s63
	s_or_b64 s[56:57], s[38:39], vcc
	s_and_saveexec_b64 s[58:59], s[56:57]
	s_xor_b64 s[56:57], exec, s[58:59]
	s_cbranch_execz .LBB8_135
; %bb.132:                              ;   in Loop: Header=BB8_131 Depth=3
	s_cmp_lt_i32 s64, s5
	s_cselect_b64 s[58:59], -1, 0
	v_cmp_ge_i32_e32 vcc, s64, v12
	s_and_b64 s[66:67], s[58:59], vcc
	s_and_saveexec_b64 s[58:59], s[66:67]
	s_cbranch_execz .LBB8_134
; %bb.133:                              ;   in Loop: Header=BB8_131 Depth=3
	s_add_u32 s66, s52, s22
	s_addc_u32 s67, s53, s23
	v_lshl_add_u64 v[14:15], s[66:67], 0, v[8:9]
	v_lshl_add_u64 v[14:15], v[14:15], 0, s[46:47]
	flat_load_dword v14, v[14:15]
	v_mov_b32_e32 v15, s62
	ds_read_b32 v15, v15
	s_waitcnt vmcnt(0) lgkmcnt(0)
	v_fmac_f32_e32 v4, v14, v15
.LBB8_134:                              ;   in Loop: Header=BB8_131 Depth=3
	s_or_b64 exec, exec, s[58:59]
.LBB8_135:                              ;   in Loop: Header=BB8_131 Depth=3
	s_andn2_saveexec_b64 s[56:57], s[56:57]
	s_cbranch_execz .LBB8_137
; %bb.136:                              ;   in Loop: Header=BB8_131 Depth=3
	v_mov_b32_e32 v14, s62
	ds_read_b32 v14, v14
	s_waitcnt lgkmcnt(0)
	v_add_f32_e32 v4, v4, v14
.LBB8_137:                              ;   in Loop: Header=BB8_131 Depth=3
	s_or_b64 exec, exec, s[56:57]
	v_cmp_ne_u32_e32 vcc, s63, v13
	s_or_b64 s[56:57], s[38:39], vcc
	s_and_saveexec_b64 s[58:59], s[56:57]
	s_xor_b64 s[56:57], exec, s[58:59]
	s_cbranch_execz .LBB8_141
; %bb.138:                              ;   in Loop: Header=BB8_131 Depth=3
	s_add_i32 s64, s64, 1
	s_cmp_lt_i32 s64, s5
	s_cselect_b64 s[58:59], -1, 0
	v_cmp_ge_i32_e32 vcc, s64, v12
	s_and_b64 s[64:65], s[58:59], vcc
	s_and_saveexec_b64 s[58:59], s[64:65]
	s_cbranch_execz .LBB8_140
; %bb.139:                              ;   in Loop: Header=BB8_131 Depth=3
	s_add_u32 s64, s54, s22
	s_addc_u32 s65, s55, s23
	v_lshl_add_u64 v[14:15], s[64:65], 0, v[6:7]
	v_lshl_add_u64 v[14:15], v[14:15], 0, s[46:47]
	flat_load_dword v14, v[14:15]
	v_mov_b32_e32 v15, s62
	ds_read_b32 v15, v15 offset:4
	s_waitcnt vmcnt(0) lgkmcnt(0)
	v_fmac_f32_e32 v4, v14, v15
.LBB8_140:                              ;   in Loop: Header=BB8_131 Depth=3
	s_or_b64 exec, exec, s[58:59]
.LBB8_141:                              ;   in Loop: Header=BB8_131 Depth=3
	s_andn2_saveexec_b64 s[56:57], s[56:57]
	s_cbranch_execz .LBB8_130
; %bb.142:                              ;   in Loop: Header=BB8_131 Depth=3
	v_mov_b32_e32 v14, s62
	ds_read_b32 v14, v14 offset:4
	s_waitcnt lgkmcnt(0)
	v_add_f32_e32 v4, v4, v14
	s_branch .LBB8_130
.LBB8_143:                              ;   in Loop: Header=BB8_114 Depth=1
	s_or_b64 exec, exec, s[44:45]
.LBB8_144:                              ;   in Loop: Header=BB8_114 Depth=1
	s_and_saveexec_b64 s[44:45], s[0:1]
	s_cbranch_execz .LBB8_113
; %bb.145:                              ;   in Loop: Header=BB8_114 Depth=1
	ds_read_b32 v3, v1
	v_mad_u64_u32 v[6:7], s[0:1], s8, v10, 0
	v_mov_b32_e32 v4, v7
	v_mad_u64_u32 v[8:9], s[0:1], s9, v10, v[4:5]
	v_mov_b32_e32 v7, v8
	v_lshl_add_u64 v[6:7], v[6:7], 2, s[16:17]
	s_waitcnt lgkmcnt(0)
	flat_store_dword v[6:7], v3
	s_branch .LBB8_113
.LBB8_146:
	s_mov_b64 s[0:1], 0
.LBB8_147:
	s_andn2_b64 vcc, exec, s[0:1]
	s_cbranch_vccnz .LBB8_183
; %bb.148:
	s_andn2_b64 vcc, exec, s[24:25]
	s_cbranch_vccnz .LBB8_183
; %bb.149:
	s_ashr_i32 s7, s6, 31
	s_add_i32 s28, s5, 0xfffffe00
	s_add_i32 s24, s5, -1
	s_lshl_b64 s[0:1], s[6:7], 2
	s_add_u32 s2, s22, s0
	s_addc_u32 s3, s23, s1
	s_ashr_i32 s25, s24, 31
	s_lshl_b64 s[0:1], s[24:25], 2
	s_sub_u32 s0, s2, s0
	s_subb_u32 s1, s3, s1
	s_add_u32 s22, s20, s0
	s_addc_u32 s23, s21, s1
	s_lshl_b64 s[26:27], s[12:13], 2
	s_add_u32 s4, s26, 4
	s_addc_u32 s25, s27, 0
	s_sub_i32 s0, s6, s5
	s_add_i32 s33, s0, 0x1ff
	s_add_u32 s0, s10, s6
	s_addc_u32 s1, s11, s7
	s_ashr_i32 s3, s5, 31
	s_mov_b32 s2, s5
	s_lshl_b64 s[0:1], s[0:1], 2
	s_lshl_b64 s[2:3], s[2:3], 2
	s_sub_u32 s0, s0, s2
	s_subb_u32 s1, s1, s3
	s_add_u32 s0, s20, s0
	s_addc_u32 s1, s21, s1
	s_add_u32 s7, s0, 0x800
	s_addc_u32 s42, s1, 0
	s_lshl_b64 s[0:1], s[12:13], 3
	v_mov_b32_e32 v1, 0x1000
	v_add_u32_e32 v3, s5, v0
	s_add_u32 s10, s0, -8
	v_lshl_or_b32 v1, v0, 2, v1
	v_add_u32_e32 v2, 0xfffffe00, v3
	v_add_u32_e32 v12, 0xfffffc00, v3
	s_addc_u32 s11, s1, -1
	v_mov_b32_e32 v5, 0
	s_xor_b64 s[18:19], s[18:19], -1
	s_branch .LBB8_151
.LBB8_150:                              ;   in Loop: Header=BB8_151 Depth=1
	s_or_b64 exec, exec, s[20:21]
	s_addk_i32 s24, 0xfe00
	s_add_u32 s22, s22, 0x800
	s_addc_u32 s23, s23, 0
	s_addk_i32 s5, 0xfe00
	s_addk_i32 s33, 0x200
	s_add_u32 s7, s7, 0x800
	v_add_u32_e32 v2, 0xfffffe00, v2
	s_addc_u32 s42, s42, 0
	v_add_u32_e32 v12, 0xfffffe00, v12
	s_and_b64 vcc, exec, s[2:3]
	s_mov_b32 s28, s43
	s_waitcnt lgkmcnt(0)
	s_barrier
	s_cbranch_vccnz .LBB8_183
.LBB8_151:                              ; =>This Loop Header: Depth=1
                                        ;     Child Loop BB8_156 Depth 2
                                        ;     Child Loop BB8_165 Depth 2
                                        ;       Child Loop BB8_168 Depth 3
	v_add_u32_e32 v13, s28, v0
	v_cmp_gt_i32_e32 vcc, 0, v13
	v_cmp_lt_i32_e64 s[0:1], -1, v13
	s_and_saveexec_b64 s[2:3], s[0:1]
	s_cbranch_execz .LBB8_153
; %bb.152:                              ;   in Loop: Header=BB8_151 Depth=1
	v_mad_u64_u32 v[6:7], s[20:21], s8, v13, 0
	v_mov_b32_e32 v4, v7
	v_mad_u64_u32 v[8:9], s[20:21], s9, v13, v[4:5]
	v_mov_b32_e32 v7, v8
	v_lshl_add_u64 v[6:7], v[6:7], 2, s[16:17]
	flat_load_dword v3, v[6:7]
	s_waitcnt vmcnt(0) lgkmcnt(0)
	ds_write_b32 v1, v3
.LBB8_153:                              ;   in Loop: Header=BB8_151 Depth=1
	s_or_b64 exec, exec, s[2:3]
	v_mov_b32_e32 v3, v5
	v_mov_b64_e32 v[6:7], s[22:23]
	v_lshl_add_u64 v[8:9], v[2:3], 2, s[22:23]
	v_add_u32_e32 v3, s6, v13
	s_movk_i32 s29, 0x1ff
	s_movk_i32 s30, 0x17fc
	s_xor_b64 s[20:21], vcc, -1
	s_mov_b32 s31, s24
	s_waitcnt lgkmcnt(0)
	s_barrier
	s_branch .LBB8_156
.LBB8_154:                              ;   in Loop: Header=BB8_156 Depth=2
	s_or_b64 exec, exec, s[2:3]
	s_add_i32 s29, s29, -1
	s_add_i32 s30, s30, -4
	s_add_i32 s31, s31, -1
	s_cmp_eq_u32 s29, -1
	v_lshl_add_u64 v[8:9], v[8:9], 0, 4
	v_lshl_add_u64 v[6:7], v[6:7], 0, 4
	s_cselect_b64 s[2:3], -1, 0
.LBB8_155:                              ;   in Loop: Header=BB8_156 Depth=2
	s_and_b64 vcc, exec, s[2:3]
	s_cbranch_vccnz .LBB8_161
.LBB8_156:                              ;   Parent Loop BB8_151 Depth=1
                                        ; =>  This Inner Loop Header: Depth=2
	s_add_i32 s34, s24, s29
	s_addk_i32 s34, 0xfe01
	s_cmp_lt_i32 s34, 0
	s_mov_b64 s[2:3], -1
	s_cbranch_scc1 .LBB8_155
; %bb.157:                              ;   in Loop: Header=BB8_156 Depth=2
	v_cmp_eq_u32_e32 vcc, s29, v0
	s_and_b64 s[36:37], s[18:19], vcc
	s_and_saveexec_b64 s[2:3], s[36:37]
	s_cbranch_execz .LBB8_159
; %bb.158:                              ;   in Loop: Header=BB8_156 Depth=2
	s_mul_i32 s35, s25, s31
	s_mul_hi_u32 s36, s4, s31
	s_add_i32 s37, s36, s35
	s_mul_i32 s36, s4, s31
	v_lshl_add_u64 v[10:11], v[6:7], 0, s[36:37]
	flat_load_dword v4, v[10:11]
	ds_read_b32 v10, v1
	s_waitcnt vmcnt(0) lgkmcnt(0)
	v_div_scale_f32 v11, s[36:37], v4, v4, v10
	v_rcp_f32_e32 v14, v11
	v_div_scale_f32 v15, vcc, v10, v4, v10
	v_fma_f32 v16, -v11, v14, 1.0
	v_fmac_f32_e32 v14, v16, v14
	v_mul_f32_e32 v16, v15, v14
	v_fma_f32 v17, -v11, v16, v15
	v_fmac_f32_e32 v16, v17, v14
	v_fma_f32 v11, -v11, v16, v15
	v_div_fmas_f32 v11, v11, v14, v16
	v_div_fixup_f32 v4, v11, v4, v10
	ds_write_b32 v1, v4
.LBB8_159:                              ;   in Loop: Header=BB8_156 Depth=2
	s_or_b64 exec, exec, s[2:3]
	v_cmp_gt_u32_e32 vcc, s29, v0
	v_cmp_le_i32_e64 s[2:3], s34, v3
	s_and_b64 s[34:35], s[20:21], vcc
	s_and_b64 s[34:35], s[34:35], s[2:3]
	s_waitcnt lgkmcnt(0)
	s_barrier
	s_and_saveexec_b64 s[2:3], s[34:35]
	s_cbranch_execz .LBB8_154
; %bb.160:                              ;   in Loop: Header=BB8_156 Depth=2
	v_mov_b32_e32 v4, s31
	v_mad_u64_u32 v[10:11], s[34:35], s26, v4, v[8:9]
	s_mul_i32 s34, s27, s31
	s_nop 0
	v_add_u32_e32 v11, s34, v11
	flat_load_dword v4, v[10:11]
	v_mov_b32_e32 v10, s30
	ds_read_b32 v10, v10
	ds_read_b32 v11, v1
	s_waitcnt vmcnt(0) lgkmcnt(0)
	v_fma_f32 v4, -v4, v10, v11
	ds_write_b32 v1, v4
	s_branch .LBB8_154
.LBB8_161:                              ;   in Loop: Header=BB8_151 Depth=1
	s_add_i32 s43, s28, 0xfffffe00
	s_cmp_lt_i32 s28, 1
	s_cselect_b64 s[2:3], -1, 0
	s_and_b64 vcc, exec, s[2:3]
	s_waitcnt lgkmcnt(0)
	s_barrier
	s_cbranch_vccnz .LBB8_181
; %bb.162:                              ;   in Loop: Header=BB8_151 Depth=1
	s_mul_i32 s20, s27, s28
	s_mul_hi_u32 s21, s26, s28
	s_add_i32 s21, s21, s20
	s_mul_i32 s20, s26, s28
	s_add_u32 s20, s7, s20
	s_addc_u32 s21, s42, s21
	s_mov_b64 s[28:29], 0
	v_mov_b32_e32 v6, v12
	v_mov_b32_e32 v3, v0
	s_mov_b32 s44, s43
                                        ; implicit-def: $sgpr30_sgpr31
	s_branch .LBB8_165
.LBB8_163:                              ;   in Loop: Header=BB8_165 Depth=2
	v_mad_u64_u32 v[8:9], s[36:37], s8, v4, 0
	v_mov_b32_e32 v10, v9
	v_mad_u64_u32 v[10:11], s[36:37], s9, v4, v[10:11]
	v_mov_b32_e32 v9, v10
	v_lshl_add_u64 v[8:9], v[8:9], 2, s[16:17]
	flat_load_dword v4, v[8:9]
	s_add_i32 s38, s44, 0xfffffe00
	s_cmp_lt_i32 s44, 1
	s_cselect_b64 s[36:37], -1, 0
	s_andn2_b64 s[30:31], s[30:31], exec
	s_and_b64 s[36:37], s[36:37], exec
	v_add_u32_e32 v6, 0xfffffe00, v6
	s_or_b64 s[30:31], s[30:31], s[36:37]
	s_mov_b32 s44, s38
	s_waitcnt vmcnt(0) lgkmcnt(0)
	v_sub_f32_e32 v4, v4, v7
	flat_store_dword v[8:9], v4
.LBB8_164:                              ;   in Loop: Header=BB8_165 Depth=2
	s_or_b64 exec, exec, s[34:35]
	s_and_b64 s[34:35], exec, s[30:31]
	s_or_b64 s[28:29], s[34:35], s[28:29]
	s_andn2_b64 exec, exec, s[28:29]
	s_cbranch_execz .LBB8_180
.LBB8_165:                              ;   Parent Loop BB8_151 Depth=1
                                        ; =>  This Loop Header: Depth=2
                                        ;       Child Loop BB8_168 Depth 3
	v_add_u32_e32 v4, s44, v0
	v_cmp_lt_i32_e32 vcc, -1, v4
	s_or_b64 s[30:31], s[30:31], exec
	s_and_saveexec_b64 s[34:35], vcc
	s_cbranch_execz .LBB8_164
; %bb.166:                              ;   in Loop: Header=BB8_165 Depth=2
	v_mov_b32_e32 v7, v5
	v_lshl_add_u64 v[8:9], v[6:7], 2, s[20:21]
	v_add_u32_e32 v14, s6, v4
	v_lshl_add_u64 v[10:11], v[4:5], 2, s[14:15]
	v_add_u32_e32 v15, 0xfffffdff, v3
	v_add_u32_e32 v3, 0xfffffe00, v3
	v_mov_b32_e32 v7, 0
	s_mov_b32 s45, 0
	s_movk_i32 s46, 0x1000
	s_mov_b32 s36, s33
	s_branch .LBB8_168
.LBB8_167:                              ;   in Loop: Header=BB8_168 Depth=3
	s_or_b64 exec, exec, s[38:39]
	s_add_i32 s45, s45, 2
	s_add_i32 s46, s46, 8
	s_add_i32 s36, s36, -2
	s_cmpk_eq_i32 s45, 0x200
	v_lshl_add_u64 v[8:9], v[8:9], 0, s[10:11]
	s_cbranch_scc1 .LBB8_163
.LBB8_168:                              ;   Parent Loop BB8_151 Depth=1
                                        ;     Parent Loop BB8_165 Depth=2
                                        ; =>    This Inner Loop Header: Depth=3
	v_cmp_ne_u32_e32 vcc, s45, v3
	s_add_i32 s37, s5, s45
	s_or_b64 s[38:39], s[18:19], vcc
	s_and_saveexec_b64 s[40:41], s[38:39]
	s_xor_b64 s[38:39], exec, s[40:41]
	s_cbranch_execz .LBB8_172
; %bb.169:                              ;   in Loop: Header=BB8_168 Depth=3
	s_add_i32 s40, s37, 0xfffffe00
	v_cmp_le_i32_e32 vcc, s40, v14
	s_and_saveexec_b64 s[40:41], vcc
	s_cbranch_execz .LBB8_171
; %bb.170:                              ;   in Loop: Header=BB8_168 Depth=3
	flat_load_dword v16, v[8:9]
	v_mov_b32_e32 v17, s46
	ds_read_b32 v17, v17
	s_waitcnt vmcnt(0) lgkmcnt(0)
	v_fmac_f32_e32 v7, v16, v17
.LBB8_171:                              ;   in Loop: Header=BB8_168 Depth=3
	s_or_b64 exec, exec, s[40:41]
.LBB8_172:                              ;   in Loop: Header=BB8_168 Depth=3
	s_andn2_saveexec_b64 s[38:39], s[38:39]
	s_cbranch_execz .LBB8_174
; %bb.173:                              ;   in Loop: Header=BB8_168 Depth=3
	v_mov_b32_e32 v16, s46
	ds_read_b32 v16, v16
	s_waitcnt lgkmcnt(0)
	v_add_f32_e32 v7, v7, v16
.LBB8_174:                              ;   in Loop: Header=BB8_168 Depth=3
	s_or_b64 exec, exec, s[38:39]
	v_cmp_ne_u32_e32 vcc, s45, v15
	s_or_b64 s[38:39], s[18:19], vcc
	s_and_saveexec_b64 s[40:41], s[38:39]
	s_xor_b64 s[38:39], exec, s[40:41]
	s_cbranch_execz .LBB8_178
; %bb.175:                              ;   in Loop: Header=BB8_168 Depth=3
	s_add_i32 s47, s37, 0xfffffe01
	v_cmp_le_i32_e32 vcc, s47, v14
	s_and_saveexec_b64 s[40:41], vcc
	s_cbranch_execz .LBB8_177
; %bb.176:                              ;   in Loop: Header=BB8_168 Depth=3
	s_mul_i32 s48, s13, s47
	s_mul_hi_u32 s49, s12, s47
	s_add_i32 s49, s49, s48
	s_mul_i32 s48, s12, s47
	s_ashr_i32 s37, s36, 31
	v_lshl_add_u64 v[16:17], s[48:49], 2, v[10:11]
	v_lshl_add_u64 v[16:17], s[36:37], 2, v[16:17]
	flat_load_dword v16, v[16:17]
	v_mov_b32_e32 v17, s46
	ds_read_b32 v17, v17 offset:4
	s_waitcnt vmcnt(0) lgkmcnt(0)
	v_fmac_f32_e32 v7, v16, v17
.LBB8_177:                              ;   in Loop: Header=BB8_168 Depth=3
	s_or_b64 exec, exec, s[40:41]
.LBB8_178:                              ;   in Loop: Header=BB8_168 Depth=3
	s_andn2_saveexec_b64 s[38:39], s[38:39]
	s_cbranch_execz .LBB8_167
; %bb.179:                              ;   in Loop: Header=BB8_168 Depth=3
	v_mov_b32_e32 v16, s46
	ds_read_b32 v16, v16 offset:4
	s_waitcnt lgkmcnt(0)
	v_add_f32_e32 v7, v7, v16
	s_branch .LBB8_167
.LBB8_180:                              ;   in Loop: Header=BB8_151 Depth=1
	s_or_b64 exec, exec, s[28:29]
.LBB8_181:                              ;   in Loop: Header=BB8_151 Depth=1
	s_and_saveexec_b64 s[20:21], s[0:1]
	s_cbranch_execz .LBB8_150
; %bb.182:                              ;   in Loop: Header=BB8_151 Depth=1
	ds_read_b32 v3, v1
	v_mad_u64_u32 v[6:7], s[0:1], s8, v13, 0
	v_mov_b32_e32 v4, v7
	v_mad_u64_u32 v[8:9], s[0:1], s9, v13, v[4:5]
	v_mov_b32_e32 v7, v8
	v_lshl_add_u64 v[6:7], v[6:7], 2, s[16:17]
	s_waitcnt lgkmcnt(0)
	flat_store_dword v[6:7], v3
	s_branch .LBB8_150
.LBB8_183:
	s_endpgm
	.section	.rodata,"a",@progbits
	.p2align	6, 0x0
	.amdhsa_kernel _ZL19rocblas_tbsv_kernelILb1ELi512EPKPKfPKPfEv18rocblas_operation_bbiiT1_lllT2_lll
		.amdhsa_group_segment_fixed_size 8192
		.amdhsa_private_segment_fixed_size 0
		.amdhsa_kernarg_size 80
		.amdhsa_user_sgpr_count 2
		.amdhsa_user_sgpr_dispatch_ptr 0
		.amdhsa_user_sgpr_queue_ptr 0
		.amdhsa_user_sgpr_kernarg_segment_ptr 1
		.amdhsa_user_sgpr_dispatch_id 0
		.amdhsa_user_sgpr_kernarg_preload_length 0
		.amdhsa_user_sgpr_kernarg_preload_offset 0
		.amdhsa_user_sgpr_private_segment_size 0
		.amdhsa_uses_dynamic_stack 0
		.amdhsa_enable_private_segment 0
		.amdhsa_system_sgpr_workgroup_id_x 1
		.amdhsa_system_sgpr_workgroup_id_y 0
		.amdhsa_system_sgpr_workgroup_id_z 0
		.amdhsa_system_sgpr_workgroup_info 0
		.amdhsa_system_vgpr_workitem_id 0
		.amdhsa_next_free_vgpr 21
		.amdhsa_next_free_sgpr 68
		.amdhsa_accum_offset 24
		.amdhsa_reserve_vcc 1
		.amdhsa_float_round_mode_32 0
		.amdhsa_float_round_mode_16_64 0
		.amdhsa_float_denorm_mode_32 3
		.amdhsa_float_denorm_mode_16_64 3
		.amdhsa_dx10_clamp 1
		.amdhsa_ieee_mode 1
		.amdhsa_fp16_overflow 0
		.amdhsa_tg_split 0
		.amdhsa_exception_fp_ieee_invalid_op 0
		.amdhsa_exception_fp_denorm_src 0
		.amdhsa_exception_fp_ieee_div_zero 0
		.amdhsa_exception_fp_ieee_overflow 0
		.amdhsa_exception_fp_ieee_underflow 0
		.amdhsa_exception_fp_ieee_inexact 0
		.amdhsa_exception_int_div_zero 0
	.end_amdhsa_kernel
	.section	.text._ZL19rocblas_tbsv_kernelILb1ELi512EPKPKfPKPfEv18rocblas_operation_bbiiT1_lllT2_lll,"axG",@progbits,_ZL19rocblas_tbsv_kernelILb1ELi512EPKPKfPKPfEv18rocblas_operation_bbiiT1_lllT2_lll,comdat
.Lfunc_end8:
	.size	_ZL19rocblas_tbsv_kernelILb1ELi512EPKPKfPKPfEv18rocblas_operation_bbiiT1_lllT2_lll, .Lfunc_end8-_ZL19rocblas_tbsv_kernelILb1ELi512EPKPKfPKPfEv18rocblas_operation_bbiiT1_lllT2_lll
                                        ; -- End function
	.set _ZL19rocblas_tbsv_kernelILb1ELi512EPKPKfPKPfEv18rocblas_operation_bbiiT1_lllT2_lll.num_vgpr, 21
	.set _ZL19rocblas_tbsv_kernelILb1ELi512EPKPKfPKPfEv18rocblas_operation_bbiiT1_lllT2_lll.num_agpr, 0
	.set _ZL19rocblas_tbsv_kernelILb1ELi512EPKPKfPKPfEv18rocblas_operation_bbiiT1_lllT2_lll.numbered_sgpr, 68
	.set _ZL19rocblas_tbsv_kernelILb1ELi512EPKPKfPKPfEv18rocblas_operation_bbiiT1_lllT2_lll.num_named_barrier, 0
	.set _ZL19rocblas_tbsv_kernelILb1ELi512EPKPKfPKPfEv18rocblas_operation_bbiiT1_lllT2_lll.private_seg_size, 0
	.set _ZL19rocblas_tbsv_kernelILb1ELi512EPKPKfPKPfEv18rocblas_operation_bbiiT1_lllT2_lll.uses_vcc, 1
	.set _ZL19rocblas_tbsv_kernelILb1ELi512EPKPKfPKPfEv18rocblas_operation_bbiiT1_lllT2_lll.uses_flat_scratch, 0
	.set _ZL19rocblas_tbsv_kernelILb1ELi512EPKPKfPKPfEv18rocblas_operation_bbiiT1_lllT2_lll.has_dyn_sized_stack, 0
	.set _ZL19rocblas_tbsv_kernelILb1ELi512EPKPKfPKPfEv18rocblas_operation_bbiiT1_lllT2_lll.has_recursion, 0
	.set _ZL19rocblas_tbsv_kernelILb1ELi512EPKPKfPKPfEv18rocblas_operation_bbiiT1_lllT2_lll.has_indirect_call, 0
	.section	.AMDGPU.csdata,"",@progbits
; Kernel info:
; codeLenInByte = 6156
; TotalNumSgprs: 74
; NumVgprs: 21
; NumAgprs: 0
; TotalNumVgprs: 21
; ScratchSize: 0
; MemoryBound: 0
; FloatMode: 240
; IeeeMode: 1
; LDSByteSize: 8192 bytes/workgroup (compile time only)
; SGPRBlocks: 9
; VGPRBlocks: 2
; NumSGPRsForWavesPerEU: 74
; NumVGPRsForWavesPerEU: 21
; AccumOffset: 24
; Occupancy: 8
; WaveLimiterHint : 1
; COMPUTE_PGM_RSRC2:SCRATCH_EN: 0
; COMPUTE_PGM_RSRC2:USER_SGPR: 2
; COMPUTE_PGM_RSRC2:TRAP_HANDLER: 0
; COMPUTE_PGM_RSRC2:TGID_X_EN: 1
; COMPUTE_PGM_RSRC2:TGID_Y_EN: 0
; COMPUTE_PGM_RSRC2:TGID_Z_EN: 0
; COMPUTE_PGM_RSRC2:TIDIG_COMP_CNT: 0
; COMPUTE_PGM_RSRC3_GFX90A:ACCUM_OFFSET: 5
; COMPUTE_PGM_RSRC3_GFX90A:TG_SPLIT: 0
	.section	.text._ZL19rocblas_tbsv_kernelILb0ELi512EPKPKfPKPfEv18rocblas_operation_bbiiT1_lllT2_lll,"axG",@progbits,_ZL19rocblas_tbsv_kernelILb0ELi512EPKPKfPKPfEv18rocblas_operation_bbiiT1_lllT2_lll,comdat
	.globl	_ZL19rocblas_tbsv_kernelILb0ELi512EPKPKfPKPfEv18rocblas_operation_bbiiT1_lllT2_lll ; -- Begin function _ZL19rocblas_tbsv_kernelILb0ELi512EPKPKfPKPfEv18rocblas_operation_bbiiT1_lllT2_lll
	.p2align	8
	.type	_ZL19rocblas_tbsv_kernelILb0ELi512EPKPKfPKPfEv18rocblas_operation_bbiiT1_lllT2_lll,@function
_ZL19rocblas_tbsv_kernelILb0ELi512EPKPKfPKPfEv18rocblas_operation_bbiiT1_lllT2_lll: ; @_ZL19rocblas_tbsv_kernelILb0ELi512EPKPKfPKPfEv18rocblas_operation_bbiiT1_lllT2_lll
; %bb.0:
	s_load_dwordx2 s[34:35], s[0:1], 0x0
	s_load_dwordx4 s[4:7], s[0:1], 0x4
	s_load_dwordx4 s[8:11], s[0:1], 0x10
	s_load_dwordx2 s[12:13], s[0:1], 0x20
	s_mov_b32 s3, 0
	s_waitcnt lgkmcnt(0)
	s_bitcmp1_b32 s35, 0
	s_cselect_b64 s[14:15], -1, 0
	s_xor_b64 s[26:27], s[14:15], -1
	s_bitcmp1_b32 s4, 8
	s_cselect_b64 s[18:19], -1, 0
	s_lshl_b64 s[2:3], s[2:3], 3
	s_add_u32 s14, s8, s2
	s_addc_u32 s15, s9, s3
	s_load_dwordx2 s[20:21], s[14:15], 0x0
	s_load_dwordx4 s[28:31], s[0:1], 0x30
	s_load_dwordx2 s[8:9], s[0:1], 0x40
	s_lshl_b64 s[22:23], s[10:11], 2
	s_waitcnt lgkmcnt(0)
	s_add_u32 s14, s20, s22
	s_addc_u32 s15, s21, s23
	s_add_u32 s0, s28, s2
	s_addc_u32 s1, s29, s3
	s_load_dwordx2 s[0:1], s[0:1], 0x0
	s_lshl_b64 s[2:3], s[30:31], 2
	s_waitcnt lgkmcnt(0)
	s_add_u32 s16, s0, s2
	s_addc_u32 s17, s1, s3
	s_cmp_gt_i32 s5, 0
	s_cselect_b64 s[24:25], -1, 0
	s_cmpk_lg_i32 s34, 0x6f
	s_mov_b64 s[0:1], -1
	s_cbranch_scc0 .LBB9_109
; %bb.1:
	s_and_b64 vcc, exec, s[26:27]
	s_cbranch_vccz .LBB9_55
; %bb.2:
	s_andn2_b64 vcc, exec, s[24:25]
	s_cbranch_vccnz .LBB9_54
; %bb.3:
	s_ashr_i32 s1, s5, 31
	s_mov_b32 s0, s5
	s_add_i32 s33, s5, 0xfffffe00
	s_lshl_b64 s[0:1], s[0:1], 2
	s_add_u32 s0, s22, s0
	s_addc_u32 s1, s23, s1
	s_add_u32 s0, s20, s0
	s_addc_u32 s1, s21, s1
	v_mov_b32_e32 v1, 0x1800
	s_add_u32 s28, s0, 0xfffff800
	v_add_u32_e32 v2, s5, v0
	v_lshl_or_b32 v1, v0, 2, v1
	v_sub_u32_e32 v8, 0, v0
	v_add_u32_e32 v9, 0xfffffe01, v0
	s_addc_u32 s29, s1, -1
	v_add_u32_e32 v10, 0xfffffc00, v2
	s_lshl_b64 s[30:31], s[12:13], 2
	s_xor_b64 s[34:35], s[18:19], -1
	v_mov_b32_e32 v3, 0
	s_mov_b64 s[36:37], 0x800
	s_mov_b32 s4, s5
	s_branch .LBB9_5
.LBB9_4:                                ;   in Loop: Header=BB9_5 Depth=1
	s_or_b64 exec, exec, s[38:39]
	s_addk_i32 s4, 0xfe00
	s_add_u32 s28, s28, 0xfffff800
	s_addc_u32 s29, s29, -1
	v_add_u32_e32 v10, 0xfffffe00, v10
	s_andn2_b64 vcc, exec, s[2:3]
	s_mov_b32 s33, s7
	s_waitcnt lgkmcnt(0)
	s_barrier
	s_cbranch_vccz .LBB9_54
.LBB9_5:                                ; =>This Loop Header: Depth=1
                                        ;     Child Loop BB9_10 Depth 2
                                        ;     Child Loop BB9_24 Depth 2
                                        ;       Child Loop BB9_27 Depth 3
	v_add_u32_e32 v11, s33, v0
	v_cmp_gt_i32_e32 vcc, 0, v11
	v_cmp_lt_i32_e64 s[0:1], -1, v11
	s_and_saveexec_b64 s[2:3], s[0:1]
	s_cbranch_execz .LBB9_7
; %bb.6:                                ;   in Loop: Header=BB9_5 Depth=1
	v_mad_u64_u32 v[4:5], s[38:39], s8, v11, 0
	v_mov_b32_e32 v2, v5
	v_mad_u64_u32 v[6:7], s[38:39], s9, v11, v[2:3]
	v_mov_b32_e32 v5, v6
	v_lshl_add_u64 v[4:5], v[4:5], 2, s[16:17]
	flat_load_dword v2, v[4:5]
	s_waitcnt vmcnt(0) lgkmcnt(0)
	ds_write_b32 v1, v2
.LBB9_7:                                ;   in Loop: Header=BB9_5 Depth=1
	s_or_b64 exec, exec, s[2:3]
	v_ashrrev_i32_e32 v2, 31, v11
	v_mul_lo_u32 v7, s13, v11
	v_mul_lo_u32 v2, s12, v2
	v_mad_u64_u32 v[4:5], s[2:3], s12, v11, 0
	v_add3_u32 v5, v5, v2, v7
	v_add_u32_e32 v6, s6, v11
	v_lshl_add_u64 v[4:5], v[4:5], 2, s[14:15]
	s_movk_i32 s7, 0x1ff
	s_mov_b32 s40, 0
	s_movk_i32 s41, 0x1ff8
	s_xor_b64 s[38:39], vcc, -1
	s_waitcnt lgkmcnt(0)
	s_barrier
	s_branch .LBB9_10
.LBB9_8:                                ;   in Loop: Header=BB9_10 Depth=2
	s_or_b64 exec, exec, s[2:3]
	s_add_i32 s7, s7, -2
	s_add_i32 s40, s40, -2
	;; [unrolled: 1-line block ×3, first 2 shown]
	s_cmp_eq_u32 s42, 0
	s_cselect_b64 s[2:3], -1, 0
.LBB9_9:                                ;   in Loop: Header=BB9_10 Depth=2
	s_and_b64 vcc, exec, s[2:3]
	s_cbranch_vccnz .LBB9_20
.LBB9_10:                               ;   Parent Loop BB9_5 Depth=1
                                        ; =>  This Inner Loop Header: Depth=2
	s_add_i32 s42, s4, s40
	s_add_i32 s43, s42, -1
	s_cmp_lt_i32 s43, 0
	s_mov_b64 s[2:3], -1
	s_cbranch_scc1 .LBB9_9
; %bb.11:                               ;   in Loop: Header=BB9_10 Depth=2
	v_cmp_eq_u32_e32 vcc, s40, v9
	s_and_b64 s[44:45], s[34:35], vcc
	s_and_saveexec_b64 s[2:3], s[44:45]
	s_cbranch_execz .LBB9_13
; %bb.12:                               ;   in Loop: Header=BB9_10 Depth=2
	s_mul_i32 s44, s13, s43
	s_mul_hi_u32 s45, s12, s43
	s_add_i32 s45, s45, s44
	s_mul_i32 s44, s12, s43
	s_lshl_b64 s[44:45], s[44:45], 2
	s_add_u32 s44, s14, s44
	s_addc_u32 s45, s15, s45
	v_mov_b64_e32 v[12:13], s[44:45]
	flat_load_dword v2, v[12:13]
	ds_read_b32 v7, v1
	s_waitcnt vmcnt(0) lgkmcnt(0)
	v_div_scale_f32 v12, s[44:45], v2, v2, v7
	v_rcp_f32_e32 v13, v12
	v_div_scale_f32 v14, vcc, v7, v2, v7
	v_fma_f32 v15, -v12, v13, 1.0
	v_fmac_f32_e32 v13, v15, v13
	v_mul_f32_e32 v15, v14, v13
	v_fma_f32 v16, -v12, v15, v14
	v_fmac_f32_e32 v15, v16, v13
	v_fma_f32 v12, -v12, v15, v14
	v_div_fmas_f32 v12, v12, v13, v15
	v_div_fixup_f32 v2, v12, v2, v7
	ds_write_b32 v1, v2
.LBB9_13:                               ;   in Loop: Header=BB9_10 Depth=2
	s_or_b64 exec, exec, s[2:3]
	v_cmp_gt_u32_e32 vcc, s7, v0
	v_cmp_le_i32_e64 s[2:3], s43, v6
	s_and_b64 s[44:45], s[38:39], vcc
	s_and_b64 s[44:45], s[44:45], s[2:3]
	s_waitcnt lgkmcnt(0)
	s_barrier
	s_and_saveexec_b64 s[2:3], s[44:45]
	s_cbranch_execz .LBB9_15
; %bb.14:                               ;   in Loop: Header=BB9_10 Depth=2
	v_add_u32_e32 v2, s40, v8
	v_add_u32_e32 v2, 0x1ff, v2
	v_lshl_add_u64 v[12:13], v[2:3], 2, v[4:5]
	flat_load_dword v2, v[12:13]
	v_mov_b32_e32 v7, s41
	ds_read_b32 v7, v7 offset:4
	ds_read_b32 v12, v1
	s_waitcnt vmcnt(0) lgkmcnt(0)
	v_fma_f32 v2, -v2, v7, v12
	ds_write_b32 v1, v2
.LBB9_15:                               ;   in Loop: Header=BB9_10 Depth=2
	s_or_b64 exec, exec, s[2:3]
	s_add_i32 s43, s42, -2
	s_cmp_lt_i32 s43, 0
	s_mov_b64 s[2:3], -1
	s_cbranch_scc1 .LBB9_9
; %bb.16:                               ;   in Loop: Header=BB9_10 Depth=2
	s_add_i32 s42, s7, -1
	v_cmp_eq_u32_e32 vcc, s42, v0
	s_and_b64 s[44:45], s[34:35], vcc
	s_and_saveexec_b64 s[2:3], s[44:45]
	s_cbranch_execz .LBB9_18
; %bb.17:                               ;   in Loop: Header=BB9_10 Depth=2
	s_mul_i32 s44, s13, s43
	s_mul_hi_u32 s45, s12, s43
	s_add_i32 s45, s45, s44
	s_mul_i32 s44, s12, s43
	s_lshl_b64 s[44:45], s[44:45], 2
	s_add_u32 s44, s14, s44
	s_addc_u32 s45, s15, s45
	v_mov_b64_e32 v[12:13], s[44:45]
	flat_load_dword v2, v[12:13]
	ds_read_b32 v7, v1
	s_waitcnt vmcnt(0) lgkmcnt(0)
	v_div_scale_f32 v12, s[44:45], v2, v2, v7
	v_rcp_f32_e32 v13, v12
	v_div_scale_f32 v14, vcc, v7, v2, v7
	v_fma_f32 v15, -v12, v13, 1.0
	v_fmac_f32_e32 v13, v15, v13
	v_mul_f32_e32 v15, v14, v13
	v_fma_f32 v16, -v12, v15, v14
	v_fmac_f32_e32 v15, v16, v13
	v_fma_f32 v12, -v12, v15, v14
	v_div_fmas_f32 v12, v12, v13, v15
	v_div_fixup_f32 v2, v12, v2, v7
	ds_write_b32 v1, v2
.LBB9_18:                               ;   in Loop: Header=BB9_10 Depth=2
	s_or_b64 exec, exec, s[2:3]
	v_cmp_gt_u32_e32 vcc, s42, v0
	v_cmp_le_i32_e64 s[2:3], s43, v6
	s_and_b64 s[44:45], s[38:39], vcc
	s_and_b64 s[44:45], s[44:45], s[2:3]
	s_waitcnt lgkmcnt(0)
	s_barrier
	s_and_saveexec_b64 s[2:3], s[44:45]
	s_cbranch_execz .LBB9_8
; %bb.19:                               ;   in Loop: Header=BB9_10 Depth=2
	v_add_u32_e32 v2, s40, v8
	v_add_u32_e32 v2, 0x1fe, v2
	v_lshl_add_u64 v[12:13], v[2:3], 2, v[4:5]
	flat_load_dword v2, v[12:13]
	v_mov_b32_e32 v7, s41
	ds_read_b32 v7, v7
	ds_read_b32 v12, v1
	s_waitcnt vmcnt(0) lgkmcnt(0)
	v_fma_f32 v2, -v2, v7, v12
	ds_write_b32 v1, v2
	s_branch .LBB9_8
.LBB9_20:                               ;   in Loop: Header=BB9_5 Depth=1
	s_add_i32 s7, s33, 0xfffffe00
	s_cmp_lt_i32 s33, 1
	s_cselect_b64 s[2:3], -1, 0
	s_and_b64 vcc, exec, s[2:3]
	s_waitcnt lgkmcnt(0)
	s_barrier
	s_cbranch_vccnz .LBB9_52
; %bb.21:                               ;   in Loop: Header=BB9_5 Depth=1
	v_mad_i64_i32 v[4:5], s[38:39], v10, -4, s[28:29]
	s_mov_b64 s[38:39], 0
	v_mov_b32_e32 v2, v10
	v_mov_b32_e32 v12, v0
	s_mov_b32 s33, s7
                                        ; implicit-def: $sgpr40_sgpr41
	s_branch .LBB9_24
.LBB9_22:                               ;   in Loop: Header=BB9_24 Depth=2
	v_mad_u64_u32 v[6:7], s[44:45], s8, v13, 0
	v_mov_b32_e32 v16, v7
	v_mad_u64_u32 v[16:17], s[44:45], s9, v13, v[16:17]
	v_mov_b32_e32 v7, v16
	v_lshl_add_u64 v[6:7], v[6:7], 2, s[16:17]
	flat_load_dword v13, v[6:7]
	s_add_i32 s46, s33, 0xfffffe00
	s_cmp_lt_i32 s33, 1
	s_cselect_b64 s[44:45], -1, 0
	s_andn2_b64 s[40:41], s[40:41], exec
	s_and_b64 s[44:45], s[44:45], exec
	v_lshl_add_u64 v[4:5], v[4:5], 0, s[36:37]
	v_add_u32_e32 v2, 0xfffffe00, v2
	s_or_b64 s[40:41], s[40:41], s[44:45]
	s_mov_b32 s33, s46
	s_waitcnt vmcnt(0) lgkmcnt(0)
	v_sub_f32_e32 v13, v13, v14
	flat_store_dword v[6:7], v13
.LBB9_23:                               ;   in Loop: Header=BB9_24 Depth=2
	s_or_b64 exec, exec, s[42:43]
	s_and_b64 s[42:43], exec, s[40:41]
	s_or_b64 s[38:39], s[42:43], s[38:39]
	s_andn2_b64 exec, exec, s[38:39]
	s_cbranch_execz .LBB9_51
.LBB9_24:                               ;   Parent Loop BB9_5 Depth=1
                                        ; =>  This Loop Header: Depth=2
                                        ;       Child Loop BB9_27 Depth 3
	v_add_u32_e32 v13, s33, v0
	v_cmp_lt_i32_e32 vcc, -1, v13
	s_or_b64 s[40:41], s[40:41], exec
	s_and_saveexec_b64 s[42:43], vcc
	s_cbranch_execz .LBB9_23
; %bb.25:                               ;   in Loop: Header=BB9_24 Depth=2
	v_mad_u64_u32 v[6:7], s[44:45], s30, v2, v[4:5]
	v_mov_b32_e32 v14, v7
	v_mad_u64_u32 v[14:15], s[44:45], s31, v2, v[14:15]
	v_mov_b32_e32 v7, v14
	v_add_u32_e32 v15, s6, v13
	v_add_u32_e32 v16, 0xfffffdfd, v12
	;; [unrolled: 1-line block ×5, first 2 shown]
	v_mov_b32_e32 v14, 0
	s_mov_b32 s48, 0
	s_movk_i32 s49, 0x1800
	s_branch .LBB9_27
.LBB9_26:                               ;   in Loop: Header=BB9_27 Depth=3
	s_or_b64 exec, exec, s[44:45]
	s_add_i32 s48, s48, 4
	s_add_i32 s49, s49, 16
	s_cmpk_eq_i32 s48, 0x200
	v_lshl_add_u64 v[6:7], v[6:7], 0, 16
	s_cbranch_scc1 .LBB9_22
.LBB9_27:                               ;   Parent Loop BB9_5 Depth=1
                                        ;     Parent Loop BB9_24 Depth=2
                                        ; =>    This Inner Loop Header: Depth=3
	v_cmp_ne_u32_e32 vcc, s48, v12
	s_add_i32 s50, s4, s48
	s_or_b64 s[44:45], s[34:35], vcc
	s_and_saveexec_b64 s[46:47], s[44:45]
	s_xor_b64 s[44:45], exec, s[46:47]
	s_cbranch_execz .LBB9_31
; %bb.28:                               ;   in Loop: Header=BB9_27 Depth=3
	s_add_i32 s46, s50, 0xfffffe00
	v_cmp_le_i32_e32 vcc, s46, v15
	s_and_saveexec_b64 s[46:47], vcc
	s_cbranch_execz .LBB9_30
; %bb.29:                               ;   in Loop: Header=BB9_27 Depth=3
	flat_load_dword v19, v[6:7]
	v_mov_b32_e32 v20, s49
	ds_read_b32 v20, v20
	s_waitcnt vmcnt(0) lgkmcnt(0)
	v_fmac_f32_e32 v14, v19, v20
.LBB9_30:                               ;   in Loop: Header=BB9_27 Depth=3
	s_or_b64 exec, exec, s[46:47]
.LBB9_31:                               ;   in Loop: Header=BB9_27 Depth=3
	s_andn2_saveexec_b64 s[44:45], s[44:45]
	s_cbranch_execz .LBB9_33
; %bb.32:                               ;   in Loop: Header=BB9_27 Depth=3
	v_mov_b32_e32 v19, s49
	ds_read_b32 v19, v19
	s_waitcnt lgkmcnt(0)
	v_add_f32_e32 v14, v14, v19
.LBB9_33:                               ;   in Loop: Header=BB9_27 Depth=3
	s_or_b64 exec, exec, s[44:45]
	v_cmp_ne_u32_e32 vcc, s48, v18
	s_or_b64 s[44:45], s[34:35], vcc
	s_and_saveexec_b64 s[46:47], s[44:45]
	s_xor_b64 s[44:45], exec, s[46:47]
	s_cbranch_execz .LBB9_37
; %bb.34:                               ;   in Loop: Header=BB9_27 Depth=3
	s_add_i32 s46, s50, 0xfffffe01
	v_cmp_le_i32_e32 vcc, s46, v15
	s_and_saveexec_b64 s[46:47], vcc
	s_cbranch_execz .LBB9_36
; %bb.35:                               ;   in Loop: Header=BB9_27 Depth=3
	flat_load_dword v19, v[6:7] offset:4
	v_mov_b32_e32 v20, s49
	ds_read_b32 v20, v20 offset:4
	s_waitcnt vmcnt(0) lgkmcnt(0)
	v_fmac_f32_e32 v14, v19, v20
.LBB9_36:                               ;   in Loop: Header=BB9_27 Depth=3
	s_or_b64 exec, exec, s[46:47]
.LBB9_37:                               ;   in Loop: Header=BB9_27 Depth=3
	s_andn2_saveexec_b64 s[44:45], s[44:45]
	s_cbranch_execz .LBB9_39
; %bb.38:                               ;   in Loop: Header=BB9_27 Depth=3
	v_mov_b32_e32 v19, s49
	ds_read_b32 v19, v19 offset:4
	s_waitcnt lgkmcnt(0)
	v_add_f32_e32 v14, v14, v19
.LBB9_39:                               ;   in Loop: Header=BB9_27 Depth=3
	s_or_b64 exec, exec, s[44:45]
	v_cmp_ne_u32_e32 vcc, s48, v17
	s_or_b64 s[44:45], s[34:35], vcc
	s_and_saveexec_b64 s[46:47], s[44:45]
	s_xor_b64 s[44:45], exec, s[46:47]
	s_cbranch_execz .LBB9_43
; %bb.40:                               ;   in Loop: Header=BB9_27 Depth=3
	s_add_i32 s46, s50, 0xfffffe02
	v_cmp_le_i32_e32 vcc, s46, v15
	s_and_saveexec_b64 s[46:47], vcc
	s_cbranch_execz .LBB9_42
; %bb.41:                               ;   in Loop: Header=BB9_27 Depth=3
	flat_load_dword v19, v[6:7] offset:8
	v_mov_b32_e32 v20, s49
	ds_read_b32 v20, v20 offset:8
	s_waitcnt vmcnt(0) lgkmcnt(0)
	v_fmac_f32_e32 v14, v19, v20
.LBB9_42:                               ;   in Loop: Header=BB9_27 Depth=3
	s_or_b64 exec, exec, s[46:47]
.LBB9_43:                               ;   in Loop: Header=BB9_27 Depth=3
	s_andn2_saveexec_b64 s[44:45], s[44:45]
	s_cbranch_execz .LBB9_45
; %bb.44:                               ;   in Loop: Header=BB9_27 Depth=3
	v_mov_b32_e32 v19, s49
	ds_read_b32 v19, v19 offset:8
	s_waitcnt lgkmcnt(0)
	v_add_f32_e32 v14, v14, v19
.LBB9_45:                               ;   in Loop: Header=BB9_27 Depth=3
	s_or_b64 exec, exec, s[44:45]
	v_cmp_ne_u32_e32 vcc, s48, v16
	s_or_b64 s[44:45], s[34:35], vcc
	s_and_saveexec_b64 s[46:47], s[44:45]
	s_xor_b64 s[44:45], exec, s[46:47]
	s_cbranch_execz .LBB9_49
; %bb.46:                               ;   in Loop: Header=BB9_27 Depth=3
	s_addk_i32 s50, 0xfe03
	v_cmp_le_i32_e32 vcc, s50, v15
	s_and_saveexec_b64 s[46:47], vcc
	s_cbranch_execz .LBB9_48
; %bb.47:                               ;   in Loop: Header=BB9_27 Depth=3
	flat_load_dword v19, v[6:7] offset:12
	v_mov_b32_e32 v20, s49
	ds_read_b32 v20, v20 offset:12
	s_waitcnt vmcnt(0) lgkmcnt(0)
	v_fmac_f32_e32 v14, v19, v20
.LBB9_48:                               ;   in Loop: Header=BB9_27 Depth=3
	s_or_b64 exec, exec, s[46:47]
.LBB9_49:                               ;   in Loop: Header=BB9_27 Depth=3
	s_andn2_saveexec_b64 s[44:45], s[44:45]
	s_cbranch_execz .LBB9_26
; %bb.50:                               ;   in Loop: Header=BB9_27 Depth=3
	v_mov_b32_e32 v19, s49
	ds_read_b32 v19, v19 offset:12
	s_waitcnt lgkmcnt(0)
	v_add_f32_e32 v14, v14, v19
	s_branch .LBB9_26
.LBB9_51:                               ;   in Loop: Header=BB9_5 Depth=1
	s_or_b64 exec, exec, s[38:39]
.LBB9_52:                               ;   in Loop: Header=BB9_5 Depth=1
	s_and_saveexec_b64 s[38:39], s[0:1]
	s_cbranch_execz .LBB9_4
; %bb.53:                               ;   in Loop: Header=BB9_5 Depth=1
	ds_read_b32 v12, v1
	v_mad_u64_u32 v[4:5], s[0:1], s8, v11, 0
	v_mov_b32_e32 v2, v5
	v_mad_u64_u32 v[6:7], s[0:1], s9, v11, v[2:3]
	v_mov_b32_e32 v5, v6
	v_lshl_add_u64 v[4:5], v[4:5], 2, s[16:17]
	s_waitcnt lgkmcnt(0)
	flat_store_dword v[4:5], v12
	s_branch .LBB9_4
.LBB9_54:
	s_mov_b64 s[0:1], 0
.LBB9_55:
	s_andn2_b64 vcc, exec, s[0:1]
	s_cbranch_vccnz .LBB9_108
; %bb.56:
	s_andn2_b64 vcc, exec, s[24:25]
	s_cbranch_vccnz .LBB9_108
; %bb.57:
	s_ashr_i32 s7, s6, 31
	s_lshl_b64 s[0:1], s[12:13], 2
	s_lshl_b64 s[2:3], s[6:7], 2
	s_add_u32 s4, s0, s2
	s_addc_u32 s7, s1, s3
	s_add_u32 s28, s20, s4
	s_addc_u32 s29, s21, s7
	s_lshl_b64 s[30:31], s[12:13], 11
	s_lshl_b64 s[34:35], s[12:13], 3
	s_add_u32 s36, s30, 0x800
	s_addc_u32 s37, s31, 0
	s_add_u32 s0, s0, -4
	s_addc_u32 s4, s1, -1
	s_add_u32 s38, s20, s2
	s_addc_u32 s39, s21, s3
	v_mov_b64_e32 v[2:3], s[38:39]
	v_mad_u64_u32 v[2:3], s[0:1], s0, v0, v[2:3]
	v_mov_b32_e32 v4, v3
	v_mad_u64_u32 v[4:5], s[0:1], s4, v0, v[4:5]
	v_or_b32_e32 v10, 0x200, v0
	v_mov_b32_e32 v3, v4
	v_mad_u64_u32 v[4:5], s[0:1], s12, v10, 0
	v_mov_b32_e32 v6, v5
	v_mad_u64_u32 v[6:7], s[0:1], s13, v10, v[6:7]
	s_add_u32 s0, s38, s22
	s_addc_u32 s1, s39, s23
	v_mov_b32_e32 v1, 0x800
	v_mov_b32_e32 v5, v6
	s_add_u32 s40, s30, 0xfffff800
	v_lshl_or_b32 v1, v0, 2, v1
	v_lshl_add_u64 v[4:5], v[4:5], 2, s[0:1]
	s_addc_u32 s41, s31, -1
	s_mov_b32 s4, 0
	s_xor_b64 s[42:43], s[18:19], -1
	s_branch .LBB9_59
.LBB9_58:                               ;   in Loop: Header=BB9_59 Depth=1
	s_or_b64 exec, exec, s[44:45]
	s_add_u32 s28, s28, s30
	s_addc_u32 s29, s29, s31
	s_add_u32 s38, s38, s30
	v_lshl_add_u64 v[2:3], v[2:3], 0, s[30:31]
	s_addc_u32 s39, s39, s31
	v_lshl_add_u64 v[4:5], v[4:5], 0, s[36:37]
	v_add_u32_e32 v10, 0x200, v10
	s_and_b64 vcc, exec, s[2:3]
	s_mov_b32 s4, s7
	s_waitcnt lgkmcnt(0)
	s_barrier
	s_cbranch_vccnz .LBB9_108
.LBB9_59:                               ; =>This Loop Header: Depth=1
                                        ;     Child Loop BB9_63 Depth 2
                                        ;     Child Loop BB9_78 Depth 2
                                        ;       Child Loop BB9_81 Depth 3
	v_add_u32_e32 v11, s4, v0
	v_cmp_le_i32_e32 vcc, s5, v11
	v_cmp_gt_i32_e64 s[0:1], s5, v11
	s_and_saveexec_b64 s[2:3], s[0:1]
	s_cbranch_execz .LBB9_61
; %bb.60:                               ;   in Loop: Header=BB9_59 Depth=1
	v_mad_u64_u32 v[6:7], s[44:45], s8, v11, 0
	v_mov_b32_e32 v8, v7
	v_mad_u64_u32 v[8:9], s[44:45], s9, v11, v[8:9]
	v_mov_b32_e32 v7, v8
	v_lshl_add_u64 v[6:7], v[6:7], 2, s[16:17]
	flat_load_dword v6, v[6:7]
	s_waitcnt vmcnt(0) lgkmcnt(0)
	ds_write_b32 v1, v6
.LBB9_61:                               ;   in Loop: Header=BB9_59 Depth=1
	s_or_b64 exec, exec, s[2:3]
	v_subrev_u32_e32 v8, s6, v11
	s_mov_b32 s33, 0
	s_movk_i32 s7, 0x800
	s_xor_b64 s[44:45], vcc, -1
	s_mov_b64 s[48:49], s[38:39]
	v_mov_b64_e32 v[6:7], v[2:3]
	s_mov_b64 s[46:47], s[28:29]
	s_waitcnt lgkmcnt(0)
	s_barrier
	s_branch .LBB9_63
.LBB9_62:                               ;   in Loop: Header=BB9_63 Depth=2
                                        ; implicit-def: $sgpr33
                                        ; implicit-def: $sgpr7
                                        ; implicit-def: $sgpr46_sgpr47
                                        ; implicit-def: $vgpr6_vgpr7
                                        ; implicit-def: $sgpr48_sgpr49
	s_cbranch_execnz .LBB9_74
.LBB9_63:                               ;   Parent Loop BB9_59 Depth=1
                                        ; =>  This Inner Loop Header: Depth=2
	s_add_i32 s50, s4, s33
	s_cmp_ge_i32 s50, s5
	s_cbranch_scc1 .LBB9_62
; %bb.64:                               ;   in Loop: Header=BB9_63 Depth=2
	v_cmp_eq_u32_e32 vcc, s33, v0
	s_and_b64 s[52:53], s[42:43], vcc
	s_and_saveexec_b64 s[2:3], s[52:53]
	s_cbranch_execz .LBB9_66
; %bb.65:                               ;   in Loop: Header=BB9_63 Depth=2
	s_add_u32 s52, s48, s22
	s_addc_u32 s53, s49, s23
	v_mov_b64_e32 v[12:13], s[52:53]
	flat_load_dword v9, v[12:13]
	ds_read_b32 v12, v1
	s_waitcnt vmcnt(0) lgkmcnt(0)
	v_div_scale_f32 v13, s[52:53], v9, v9, v12
	v_rcp_f32_e32 v14, v13
	v_div_scale_f32 v15, vcc, v12, v9, v12
	v_fma_f32 v16, -v13, v14, 1.0
	v_fmac_f32_e32 v14, v16, v14
	v_mul_f32_e32 v16, v15, v14
	v_fma_f32 v17, -v13, v16, v15
	v_fmac_f32_e32 v16, v17, v14
	v_fma_f32 v13, -v13, v16, v15
	v_div_fmas_f32 v13, v13, v14, v16
	v_div_fixup_f32 v9, v13, v9, v12
	ds_write_b32 v1, v9
.LBB9_66:                               ;   in Loop: Header=BB9_63 Depth=2
	s_or_b64 exec, exec, s[2:3]
	v_cmp_lt_u32_e32 vcc, s33, v0
	v_cmp_ge_i32_e64 s[2:3], s50, v8
	s_and_b64 s[52:53], s[44:45], vcc
	s_and_b64 s[52:53], s[52:53], s[2:3]
	s_waitcnt lgkmcnt(0)
	s_barrier
	s_and_saveexec_b64 s[2:3], s[52:53]
	s_cbranch_execz .LBB9_68
; %bb.67:                               ;   in Loop: Header=BB9_63 Depth=2
	v_lshl_add_u64 v[12:13], v[6:7], 0, s[22:23]
	flat_load_dword v9, v[12:13]
	v_mov_b32_e32 v12, s7
	ds_read_b32 v12, v12
	ds_read_b32 v13, v1
	s_waitcnt vmcnt(0) lgkmcnt(0)
	v_fma_f32 v9, -v9, v12, v13
	ds_write_b32 v1, v9
.LBB9_68:                               ;   in Loop: Header=BB9_63 Depth=2
	s_or_b64 exec, exec, s[2:3]
	s_add_i32 s50, s50, 1
	s_cmp_ge_i32 s50, s5
	s_cbranch_scc1 .LBB9_62
; %bb.69:                               ;   in Loop: Header=BB9_63 Depth=2
	s_add_i32 s33, s33, 1
	v_cmp_eq_u32_e32 vcc, s33, v0
	s_and_b64 s[52:53], s[42:43], vcc
	s_and_saveexec_b64 s[2:3], s[52:53]
	s_cbranch_execz .LBB9_71
; %bb.70:                               ;   in Loop: Header=BB9_63 Depth=2
	s_add_u32 s52, s46, s22
	s_addc_u32 s53, s47, s23
	v_mov_b64_e32 v[12:13], s[52:53]
	flat_load_dword v9, v[12:13]
	ds_read_b32 v12, v1
	s_waitcnt vmcnt(0) lgkmcnt(0)
	v_div_scale_f32 v13, s[52:53], v9, v9, v12
	v_rcp_f32_e32 v14, v13
	v_div_scale_f32 v15, vcc, v12, v9, v12
	v_fma_f32 v16, -v13, v14, 1.0
	v_fmac_f32_e32 v14, v16, v14
	v_mul_f32_e32 v16, v15, v14
	v_fma_f32 v17, -v13, v16, v15
	v_fmac_f32_e32 v16, v17, v14
	v_fma_f32 v13, -v13, v16, v15
	v_div_fmas_f32 v13, v13, v14, v16
	v_div_fixup_f32 v9, v13, v9, v12
	ds_write_b32 v1, v9
.LBB9_71:                               ;   in Loop: Header=BB9_63 Depth=2
	s_or_b64 exec, exec, s[2:3]
	v_cmp_lt_u32_e32 vcc, s33, v0
	v_cmp_ge_i32_e64 s[2:3], s50, v8
	s_and_b64 s[50:51], s[44:45], vcc
	s_and_b64 s[50:51], s[50:51], s[2:3]
	s_waitcnt lgkmcnt(0)
	s_barrier
	s_and_saveexec_b64 s[2:3], s[50:51]
	s_cbranch_execz .LBB9_73
; %bb.72:                               ;   in Loop: Header=BB9_63 Depth=2
	v_lshl_add_u64 v[12:13], v[6:7], 0, s[22:23]
	flat_load_dword v9, v[12:13] offset:4
	v_mov_b32_e32 v12, s7
	ds_read_b32 v12, v12 offset:4
	ds_read_b32 v13, v1
	s_waitcnt vmcnt(0) lgkmcnt(0)
	v_fma_f32 v9, -v9, v12, v13
	ds_write_b32 v1, v9
.LBB9_73:                               ;   in Loop: Header=BB9_63 Depth=2
	s_or_b64 exec, exec, s[2:3]
	s_add_i32 s7, s7, 8
	s_add_u32 s46, s46, s34
	s_addc_u32 s47, s47, s35
	s_add_u32 s48, s48, s34
	s_addc_u32 s49, s49, s35
	s_add_i32 s33, s33, 1
	s_cmpk_eq_i32 s33, 0x200
	v_lshl_add_u64 v[6:7], v[6:7], 0, 8
	s_cselect_b64 s[2:3], -1, 0
	s_and_b64 vcc, exec, s[2:3]
	s_cbranch_vccz .LBB9_63
.LBB9_74:                               ;   in Loop: Header=BB9_59 Depth=1
	s_add_i32 s7, s4, 0x200
	s_cmp_ge_i32 s7, s5
	s_cselect_b64 s[2:3], -1, 0
	s_and_b64 vcc, exec, s[2:3]
	s_waitcnt lgkmcnt(0)
	s_barrier
	s_cbranch_vccnz .LBB9_106
; %bb.75:                               ;   in Loop: Header=BB9_59 Depth=1
	v_mad_i64_i32 v[6:7], s[44:45], v10, -4, v[4:5]
	s_mov_b64 s[44:45], 0
	v_mov_b32_e32 v12, v0
	s_mov_b32 s33, s7
                                        ; implicit-def: $sgpr46_sgpr47
	s_branch .LBB9_78
.LBB9_76:                               ;   in Loop: Header=BB9_78 Depth=2
	v_mad_u64_u32 v[8:9], s[50:51], s8, v13, 0
	v_mov_b32_e32 v16, v9
	v_mad_u64_u32 v[16:17], s[50:51], s9, v13, v[16:17]
	v_mov_b32_e32 v9, v16
	v_lshl_add_u64 v[8:9], v[8:9], 2, s[16:17]
	flat_load_dword v13, v[8:9]
	s_addk_i32 s33, 0x200
	s_cmp_ge_i32 s33, s5
	s_cselect_b64 s[50:51], -1, 0
	s_andn2_b64 s[46:47], s[46:47], exec
	s_and_b64 s[50:51], s[50:51], exec
	v_lshl_add_u64 v[6:7], v[6:7], 0, s[40:41]
	s_or_b64 s[46:47], s[46:47], s[50:51]
	s_waitcnt vmcnt(0) lgkmcnt(0)
	v_sub_f32_e32 v13, v13, v14
	flat_store_dword v[8:9], v13
.LBB9_77:                               ;   in Loop: Header=BB9_78 Depth=2
	s_or_b64 exec, exec, s[48:49]
	s_and_b64 s[48:49], exec, s[46:47]
	s_or_b64 s[44:45], s[48:49], s[44:45]
	s_andn2_b64 exec, exec, s[44:45]
	s_cbranch_execz .LBB9_105
.LBB9_78:                               ;   Parent Loop BB9_59 Depth=1
                                        ; =>  This Loop Header: Depth=2
                                        ;       Child Loop BB9_81 Depth 3
	v_add_u32_e32 v13, s33, v0
	v_cmp_gt_i32_e32 vcc, s5, v13
	s_or_b64 s[46:47], s[46:47], exec
	s_and_saveexec_b64 s[48:49], vcc
	s_cbranch_execz .LBB9_77
; %bb.79:                               ;   in Loop: Header=BB9_78 Depth=2
	v_subrev_u32_e32 v15, s6, v13
	v_add_u32_e32 v16, 0x1fd, v12
	v_add_u32_e32 v17, 0x1fe, v12
	;; [unrolled: 1-line block ×4, first 2 shown]
	v_mov_b32_e32 v14, 0
	s_mov_b32 s54, 0
	s_movk_i32 s55, 0x800
	v_mov_b64_e32 v[8:9], v[6:7]
	s_branch .LBB9_81
.LBB9_80:                               ;   in Loop: Header=BB9_81 Depth=3
	s_or_b64 exec, exec, s[50:51]
	s_add_i32 s54, s54, 4
	s_add_i32 s55, s55, 16
	s_cmpk_eq_i32 s54, 0x200
	v_lshl_add_u64 v[8:9], v[8:9], 0, 16
	s_cbranch_scc1 .LBB9_76
.LBB9_81:                               ;   Parent Loop BB9_59 Depth=1
                                        ;     Parent Loop BB9_78 Depth=2
                                        ; =>    This Inner Loop Header: Depth=3
	v_cmp_ne_u32_e32 vcc, s54, v12
	s_add_i32 s56, s4, s54
	s_or_b64 s[50:51], s[42:43], vcc
	s_and_saveexec_b64 s[52:53], s[50:51]
	s_xor_b64 s[50:51], exec, s[52:53]
	s_cbranch_execz .LBB9_85
; %bb.82:                               ;   in Loop: Header=BB9_81 Depth=3
	s_cmp_lt_i32 s56, s5
	s_cselect_b64 s[52:53], -1, 0
	v_cmp_ge_i32_e32 vcc, s56, v15
	s_and_b64 s[58:59], s[52:53], vcc
	s_and_saveexec_b64 s[52:53], s[58:59]
	s_cbranch_execz .LBB9_84
; %bb.83:                               ;   in Loop: Header=BB9_81 Depth=3
	flat_load_dword v19, v[8:9]
	v_mov_b32_e32 v20, s55
	ds_read_b32 v20, v20
	s_waitcnt vmcnt(0) lgkmcnt(0)
	v_fmac_f32_e32 v14, v19, v20
.LBB9_84:                               ;   in Loop: Header=BB9_81 Depth=3
	s_or_b64 exec, exec, s[52:53]
.LBB9_85:                               ;   in Loop: Header=BB9_81 Depth=3
	s_andn2_saveexec_b64 s[50:51], s[50:51]
	s_cbranch_execz .LBB9_87
; %bb.86:                               ;   in Loop: Header=BB9_81 Depth=3
	v_mov_b32_e32 v19, s55
	ds_read_b32 v19, v19
	s_waitcnt lgkmcnt(0)
	v_add_f32_e32 v14, v14, v19
.LBB9_87:                               ;   in Loop: Header=BB9_81 Depth=3
	s_or_b64 exec, exec, s[50:51]
	v_cmp_ne_u32_e32 vcc, s54, v18
	s_or_b64 s[50:51], s[42:43], vcc
	s_and_saveexec_b64 s[52:53], s[50:51]
	s_xor_b64 s[50:51], exec, s[52:53]
	s_cbranch_execz .LBB9_91
; %bb.88:                               ;   in Loop: Header=BB9_81 Depth=3
	s_add_i32 s57, s56, 1
	s_cmp_lt_i32 s57, s5
	s_cselect_b64 s[52:53], -1, 0
	v_cmp_ge_i32_e32 vcc, s57, v15
	s_and_b64 s[58:59], s[52:53], vcc
	s_and_saveexec_b64 s[52:53], s[58:59]
	s_cbranch_execz .LBB9_90
; %bb.89:                               ;   in Loop: Header=BB9_81 Depth=3
	flat_load_dword v19, v[8:9] offset:4
	v_mov_b32_e32 v20, s55
	ds_read_b32 v20, v20 offset:4
	s_waitcnt vmcnt(0) lgkmcnt(0)
	v_fmac_f32_e32 v14, v19, v20
.LBB9_90:                               ;   in Loop: Header=BB9_81 Depth=3
	s_or_b64 exec, exec, s[52:53]
.LBB9_91:                               ;   in Loop: Header=BB9_81 Depth=3
	s_andn2_saveexec_b64 s[50:51], s[50:51]
	s_cbranch_execz .LBB9_93
; %bb.92:                               ;   in Loop: Header=BB9_81 Depth=3
	v_mov_b32_e32 v19, s55
	ds_read_b32 v19, v19 offset:4
	s_waitcnt lgkmcnt(0)
	v_add_f32_e32 v14, v14, v19
.LBB9_93:                               ;   in Loop: Header=BB9_81 Depth=3
	s_or_b64 exec, exec, s[50:51]
	v_cmp_ne_u32_e32 vcc, s54, v17
	s_or_b64 s[50:51], s[42:43], vcc
	s_and_saveexec_b64 s[52:53], s[50:51]
	s_xor_b64 s[50:51], exec, s[52:53]
	s_cbranch_execz .LBB9_97
; %bb.94:                               ;   in Loop: Header=BB9_81 Depth=3
	s_add_i32 s57, s56, 2
	s_cmp_lt_i32 s57, s5
	s_cselect_b64 s[52:53], -1, 0
	v_cmp_ge_i32_e32 vcc, s57, v15
	s_and_b64 s[58:59], s[52:53], vcc
	s_and_saveexec_b64 s[52:53], s[58:59]
	s_cbranch_execz .LBB9_96
; %bb.95:                               ;   in Loop: Header=BB9_81 Depth=3
	flat_load_dword v19, v[8:9] offset:8
	v_mov_b32_e32 v20, s55
	ds_read_b32 v20, v20 offset:8
	s_waitcnt vmcnt(0) lgkmcnt(0)
	v_fmac_f32_e32 v14, v19, v20
.LBB9_96:                               ;   in Loop: Header=BB9_81 Depth=3
	s_or_b64 exec, exec, s[52:53]
.LBB9_97:                               ;   in Loop: Header=BB9_81 Depth=3
	s_andn2_saveexec_b64 s[50:51], s[50:51]
	s_cbranch_execz .LBB9_99
; %bb.98:                               ;   in Loop: Header=BB9_81 Depth=3
	v_mov_b32_e32 v19, s55
	ds_read_b32 v19, v19 offset:8
	s_waitcnt lgkmcnt(0)
	v_add_f32_e32 v14, v14, v19
.LBB9_99:                               ;   in Loop: Header=BB9_81 Depth=3
	s_or_b64 exec, exec, s[50:51]
	v_cmp_ne_u32_e32 vcc, s54, v16
	s_or_b64 s[50:51], s[42:43], vcc
	s_and_saveexec_b64 s[52:53], s[50:51]
	s_xor_b64 s[50:51], exec, s[52:53]
	s_cbranch_execz .LBB9_103
; %bb.100:                              ;   in Loop: Header=BB9_81 Depth=3
	s_add_i32 s56, s56, 3
	s_cmp_lt_i32 s56, s5
	s_cselect_b64 s[52:53], -1, 0
	v_cmp_ge_i32_e32 vcc, s56, v15
	s_and_b64 s[56:57], s[52:53], vcc
	s_and_saveexec_b64 s[52:53], s[56:57]
	s_cbranch_execz .LBB9_102
; %bb.101:                              ;   in Loop: Header=BB9_81 Depth=3
	flat_load_dword v19, v[8:9] offset:12
	v_mov_b32_e32 v20, s55
	ds_read_b32 v20, v20 offset:12
	s_waitcnt vmcnt(0) lgkmcnt(0)
	v_fmac_f32_e32 v14, v19, v20
.LBB9_102:                              ;   in Loop: Header=BB9_81 Depth=3
	s_or_b64 exec, exec, s[52:53]
.LBB9_103:                              ;   in Loop: Header=BB9_81 Depth=3
	s_andn2_saveexec_b64 s[50:51], s[50:51]
	s_cbranch_execz .LBB9_80
; %bb.104:                              ;   in Loop: Header=BB9_81 Depth=3
	v_mov_b32_e32 v19, s55
	ds_read_b32 v19, v19 offset:12
	s_waitcnt lgkmcnt(0)
	v_add_f32_e32 v14, v14, v19
	s_branch .LBB9_80
.LBB9_105:                              ;   in Loop: Header=BB9_59 Depth=1
	s_or_b64 exec, exec, s[44:45]
.LBB9_106:                              ;   in Loop: Header=BB9_59 Depth=1
	s_and_saveexec_b64 s[44:45], s[0:1]
	s_cbranch_execz .LBB9_58
; %bb.107:                              ;   in Loop: Header=BB9_59 Depth=1
	ds_read_b32 v12, v1
	v_mad_u64_u32 v[6:7], s[0:1], s8, v11, 0
	v_mov_b32_e32 v8, v7
	v_mad_u64_u32 v[8:9], s[0:1], s9, v11, v[8:9]
	v_mov_b32_e32 v7, v8
	v_lshl_add_u64 v[6:7], v[6:7], 2, s[16:17]
	s_waitcnt lgkmcnt(0)
	flat_store_dword v[6:7], v12
	s_branch .LBB9_58
.LBB9_108:
	s_mov_b64 s[0:1], 0
.LBB9_109:
	s_andn2_b64 vcc, exec, s[0:1]
	s_cbranch_vccnz .LBB9_183
; %bb.110:
	s_mov_b64 s[0:1], -1
	s_and_b64 vcc, exec, s[26:27]
	s_cbranch_vccz .LBB9_147
; %bb.111:
	s_andn2_b64 vcc, exec, s[24:25]
	s_cbranch_vccnz .LBB9_146
; %bb.112:
	s_lshl_b64 s[26:27], s[12:13], 11
	s_lshl_b64 s[28:29], s[12:13], 2
	s_add_u32 s30, s20, s28
	s_addc_u32 s31, s21, s29
	s_lshl_b64 s[0:1], s[12:13], 3
	s_add_u32 s4, s0, -8
	v_lshlrev_b32_e32 v1, 2, v0
	v_or_b32_e32 v2, 0x200, v0
	s_addc_u32 s7, s1, -1
	s_mov_b32 s33, 0
	s_mov_b64 s[34:35], -1
	s_mov_b64 s[36:37], 0
	s_xor_b64 s[38:39], s[18:19], -1
	v_mov_b32_e32 v5, 0
	s_mov_b64 s[40:41], 0
	s_mov_b64 s[42:43], s[14:15]
	s_branch .LBB9_114
.LBB9_113:                              ;   in Loop: Header=BB9_114 Depth=1
	s_or_b64 exec, exec, s[44:45]
	s_add_u32 s42, s42, s26
	s_addc_u32 s43, s43, s27
	s_add_u32 s34, s34, 0xfffffe00
	s_addc_u32 s35, s35, -1
	s_add_u32 s40, s40, s26
	s_addc_u32 s41, s41, s27
	s_add_u32 s36, s36, 0xfffffe00
	v_add_u32_e32 v2, 0x200, v2
	s_addc_u32 s37, s37, -1
	s_and_b64 vcc, exec, s[2:3]
	s_mov_b32 s33, s60
	s_waitcnt lgkmcnt(0)
	s_barrier
	s_cbranch_vccnz .LBB9_146
.LBB9_114:                              ; =>This Loop Header: Depth=1
                                        ;     Child Loop BB9_118 Depth 2
                                        ;     Child Loop BB9_128 Depth 2
                                        ;       Child Loop BB9_131 Depth 3
	v_add_u32_e32 v10, s33, v0
	v_cmp_le_i32_e32 vcc, s5, v10
	v_cmp_gt_i32_e64 s[0:1], s5, v10
	s_and_saveexec_b64 s[2:3], s[0:1]
	s_cbranch_execz .LBB9_116
; %bb.115:                              ;   in Loop: Header=BB9_114 Depth=1
	v_mad_u64_u32 v[6:7], s[44:45], s8, v10, 0
	v_mov_b32_e32 v4, v7
	v_mad_u64_u32 v[8:9], s[44:45], s9, v10, v[4:5]
	v_mov_b32_e32 v7, v8
	v_lshl_add_u64 v[6:7], v[6:7], 2, s[16:17]
	flat_load_dword v3, v[6:7]
	s_waitcnt vmcnt(0) lgkmcnt(0)
	ds_write_b32 v1, v3
.LBB9_116:                              ;   in Loop: Header=BB9_114 Depth=1
	s_or_b64 exec, exec, s[2:3]
	v_subrev_u32_e32 v3, s6, v10
	s_mov_b32 s48, 0
	s_xor_b64 s[44:45], vcc, -1
	s_mov_b64 s[46:47], s[42:43]
	v_mov_b32_e32 v4, v0
	s_mov_b32 s49, 0
	s_waitcnt lgkmcnt(0)
	s_barrier
	s_branch .LBB9_118
.LBB9_117:                              ;   in Loop: Header=BB9_118 Depth=2
	s_or_b64 exec, exec, s[2:3]
	s_add_i32 s49, s49, 1
	s_add_i32 s48, s48, 4
	s_add_u32 s46, s46, s28
	s_addc_u32 s47, s47, s29
	s_cmpk_eq_i32 s49, 0x200
	v_add_u32_e32 v4, -1, v4
	s_cselect_b64 s[2:3], -1, 0
	s_and_b64 vcc, exec, s[2:3]
	s_cbranch_vccnz .LBB9_124
.LBB9_118:                              ;   Parent Loop BB9_114 Depth=1
                                        ; =>  This Inner Loop Header: Depth=2
	s_add_i32 s50, s33, s49
	s_cmp_ge_i32 s50, s5
	s_cbranch_scc1 .LBB9_123
; %bb.119:                              ;   in Loop: Header=BB9_118 Depth=2
	v_cmp_eq_u32_e32 vcc, s49, v0
	s_and_b64 s[52:53], s[38:39], vcc
	s_and_saveexec_b64 s[2:3], s[52:53]
	s_cbranch_execz .LBB9_121
; %bb.120:                              ;   in Loop: Header=BB9_118 Depth=2
	v_mov_b64_e32 v[6:7], s[46:47]
	flat_load_dword v6, v[6:7]
	ds_read_b32 v7, v1
	s_waitcnt vmcnt(0) lgkmcnt(0)
	v_div_scale_f32 v8, s[52:53], v6, v6, v7
	v_rcp_f32_e32 v9, v8
	v_div_scale_f32 v11, vcc, v7, v6, v7
	v_fma_f32 v12, -v8, v9, 1.0
	v_fmac_f32_e32 v9, v12, v9
	v_mul_f32_e32 v12, v11, v9
	v_fma_f32 v13, -v8, v12, v11
	v_fmac_f32_e32 v12, v13, v9
	v_fma_f32 v8, -v8, v12, v11
	v_div_fmas_f32 v8, v8, v9, v12
	v_div_fixup_f32 v6, v8, v6, v7
	ds_write_b32 v1, v6
.LBB9_121:                              ;   in Loop: Header=BB9_118 Depth=2
	s_or_b64 exec, exec, s[2:3]
	v_cmp_lt_u32_e32 vcc, s49, v0
	v_cmp_ge_i32_e64 s[2:3], s50, v3
	s_and_b64 s[50:51], s[44:45], vcc
	s_and_b64 s[50:51], s[50:51], s[2:3]
	s_waitcnt lgkmcnt(0)
	s_barrier
	s_and_saveexec_b64 s[2:3], s[50:51]
	s_cbranch_execz .LBB9_117
; %bb.122:                              ;   in Loop: Header=BB9_118 Depth=2
	v_lshl_add_u64 v[6:7], v[4:5], 2, s[46:47]
	flat_load_dword v6, v[6:7]
	v_mov_b32_e32 v7, s48
	ds_read_b32 v7, v7
	ds_read_b32 v8, v1
	s_waitcnt vmcnt(0) lgkmcnt(0)
	v_fma_f32 v6, -v6, v7, v8
	ds_write_b32 v1, v6
	s_branch .LBB9_117
.LBB9_123:                              ;   in Loop: Header=BB9_118 Depth=2
                                        ; implicit-def: $sgpr49
                                        ; implicit-def: $sgpr48
                                        ; implicit-def: $sgpr46_sgpr47
	s_cbranch_execz .LBB9_118
.LBB9_124:                              ;   in Loop: Header=BB9_114 Depth=1
	s_add_i32 s60, s33, 0x200
	s_cmp_ge_i32 s60, s5
	s_cselect_b64 s[2:3], -1, 0
	s_and_b64 vcc, exec, s[2:3]
	s_waitcnt lgkmcnt(0)
	s_barrier
	s_cbranch_vccnz .LBB9_144
; %bb.125:                              ;   in Loop: Header=BB9_114 Depth=1
	v_ashrrev_i32_e32 v3, 31, v2
	v_lshl_add_u64 v[6:7], s[34:35], 0, v[2:3]
	v_lshl_add_u64 v[8:9], s[36:37], 0, v[2:3]
	v_lshlrev_b64 v[6:7], 2, v[6:7]
	v_lshlrev_b64 v[8:9], 2, v[8:9]
	s_mov_b64 s[44:45], 0
	s_mov_b64 s[46:47], s[40:41]
	v_mov_b32_e32 v3, v0
	s_mov_b32 s61, s60
                                        ; implicit-def: $sgpr48_sgpr49
	s_branch .LBB9_128
.LBB9_126:                              ;   in Loop: Header=BB9_128 Depth=2
	v_mad_u64_u32 v[12:13], s[52:53], s8, v11, 0
	v_mov_b32_e32 v14, v13
	v_mad_u64_u32 v[14:15], s[52:53], s9, v11, v[14:15]
	v_mov_b32_e32 v13, v14
	v_lshl_add_u64 v[12:13], v[12:13], 2, s[16:17]
	flat_load_dword v11, v[12:13]
	s_addk_i32 s61, 0x200
	s_add_u32 s46, s46, 0x800
	s_addc_u32 s47, s47, 0
	s_cmp_ge_i32 s61, s5
	s_cselect_b64 s[52:53], -1, 0
	s_andn2_b64 s[48:49], s[48:49], exec
	s_and_b64 s[52:53], s[52:53], exec
	s_or_b64 s[48:49], s[48:49], s[52:53]
	s_waitcnt vmcnt(0) lgkmcnt(0)
	v_sub_f32_e32 v4, v11, v4
	flat_store_dword v[12:13], v4
.LBB9_127:                              ;   in Loop: Header=BB9_128 Depth=2
	s_or_b64 exec, exec, s[50:51]
	s_and_b64 s[50:51], exec, s[48:49]
	s_or_b64 s[44:45], s[50:51], s[44:45]
	s_andn2_b64 exec, exec, s[44:45]
	s_cbranch_execz .LBB9_143
.LBB9_128:                              ;   Parent Loop BB9_114 Depth=1
                                        ; =>  This Loop Header: Depth=2
                                        ;       Child Loop BB9_131 Depth 3
	v_add_u32_e32 v11, s61, v0
	v_cmp_gt_i32_e32 vcc, s5, v11
	s_or_b64 s[48:49], s[48:49], exec
	s_and_saveexec_b64 s[50:51], vcc
	s_cbranch_execz .LBB9_127
; %bb.129:                              ;   in Loop: Header=BB9_128 Depth=2
	v_subrev_u32_e32 v12, s6, v11
	v_add_u32_e32 v13, 0x1ff, v3
	v_add_u32_e32 v3, 0x200, v3
	v_mov_b32_e32 v4, 0
	s_mov_b32 s62, 0
	s_mov_b64 s[52:53], s[20:21]
	s_mov_b64 s[54:55], s[30:31]
	s_mov_b32 s63, 0
	s_branch .LBB9_131
.LBB9_130:                              ;   in Loop: Header=BB9_131 Depth=3
	s_or_b64 exec, exec, s[56:57]
	s_add_i32 s63, s63, 2
	s_add_u32 s54, s54, s4
	s_addc_u32 s55, s55, s7
	s_add_i32 s62, s62, 8
	s_add_u32 s52, s52, s4
	s_addc_u32 s53, s53, s7
	s_cmpk_eq_i32 s63, 0x200
	s_cbranch_scc1 .LBB9_126
.LBB9_131:                              ;   Parent Loop BB9_114 Depth=1
                                        ;     Parent Loop BB9_128 Depth=2
                                        ; =>    This Inner Loop Header: Depth=3
	v_cmp_ne_u32_e32 vcc, s63, v3
	s_add_i32 s64, s33, s63
	s_or_b64 s[56:57], s[38:39], vcc
	s_and_saveexec_b64 s[58:59], s[56:57]
	s_xor_b64 s[56:57], exec, s[58:59]
	s_cbranch_execz .LBB9_135
; %bb.132:                              ;   in Loop: Header=BB9_131 Depth=3
	s_cmp_lt_i32 s64, s5
	s_cselect_b64 s[58:59], -1, 0
	v_cmp_ge_i32_e32 vcc, s64, v12
	s_and_b64 s[66:67], s[58:59], vcc
	s_and_saveexec_b64 s[58:59], s[66:67]
	s_cbranch_execz .LBB9_134
; %bb.133:                              ;   in Loop: Header=BB9_131 Depth=3
	s_add_u32 s66, s52, s22
	s_addc_u32 s67, s53, s23
	v_lshl_add_u64 v[14:15], s[66:67], 0, v[8:9]
	v_lshl_add_u64 v[14:15], v[14:15], 0, s[46:47]
	flat_load_dword v14, v[14:15]
	v_mov_b32_e32 v15, s62
	ds_read_b32 v15, v15
	s_waitcnt vmcnt(0) lgkmcnt(0)
	v_fmac_f32_e32 v4, v14, v15
.LBB9_134:                              ;   in Loop: Header=BB9_131 Depth=3
	s_or_b64 exec, exec, s[58:59]
.LBB9_135:                              ;   in Loop: Header=BB9_131 Depth=3
	s_andn2_saveexec_b64 s[56:57], s[56:57]
	s_cbranch_execz .LBB9_137
; %bb.136:                              ;   in Loop: Header=BB9_131 Depth=3
	v_mov_b32_e32 v14, s62
	ds_read_b32 v14, v14
	s_waitcnt lgkmcnt(0)
	v_add_f32_e32 v4, v4, v14
.LBB9_137:                              ;   in Loop: Header=BB9_131 Depth=3
	s_or_b64 exec, exec, s[56:57]
	v_cmp_ne_u32_e32 vcc, s63, v13
	s_or_b64 s[56:57], s[38:39], vcc
	s_and_saveexec_b64 s[58:59], s[56:57]
	s_xor_b64 s[56:57], exec, s[58:59]
	s_cbranch_execz .LBB9_141
; %bb.138:                              ;   in Loop: Header=BB9_131 Depth=3
	s_add_i32 s64, s64, 1
	s_cmp_lt_i32 s64, s5
	s_cselect_b64 s[58:59], -1, 0
	v_cmp_ge_i32_e32 vcc, s64, v12
	s_and_b64 s[64:65], s[58:59], vcc
	s_and_saveexec_b64 s[58:59], s[64:65]
	s_cbranch_execz .LBB9_140
; %bb.139:                              ;   in Loop: Header=BB9_131 Depth=3
	s_add_u32 s64, s54, s22
	s_addc_u32 s65, s55, s23
	v_lshl_add_u64 v[14:15], s[64:65], 0, v[6:7]
	v_lshl_add_u64 v[14:15], v[14:15], 0, s[46:47]
	flat_load_dword v14, v[14:15]
	v_mov_b32_e32 v15, s62
	ds_read_b32 v15, v15 offset:4
	s_waitcnt vmcnt(0) lgkmcnt(0)
	v_fmac_f32_e32 v4, v14, v15
.LBB9_140:                              ;   in Loop: Header=BB9_131 Depth=3
	s_or_b64 exec, exec, s[58:59]
.LBB9_141:                              ;   in Loop: Header=BB9_131 Depth=3
	s_andn2_saveexec_b64 s[56:57], s[56:57]
	s_cbranch_execz .LBB9_130
; %bb.142:                              ;   in Loop: Header=BB9_131 Depth=3
	v_mov_b32_e32 v14, s62
	ds_read_b32 v14, v14 offset:4
	s_waitcnt lgkmcnt(0)
	v_add_f32_e32 v4, v4, v14
	s_branch .LBB9_130
.LBB9_143:                              ;   in Loop: Header=BB9_114 Depth=1
	s_or_b64 exec, exec, s[44:45]
.LBB9_144:                              ;   in Loop: Header=BB9_114 Depth=1
	s_and_saveexec_b64 s[44:45], s[0:1]
	s_cbranch_execz .LBB9_113
; %bb.145:                              ;   in Loop: Header=BB9_114 Depth=1
	ds_read_b32 v3, v1
	v_mad_u64_u32 v[6:7], s[0:1], s8, v10, 0
	v_mov_b32_e32 v4, v7
	v_mad_u64_u32 v[8:9], s[0:1], s9, v10, v[4:5]
	v_mov_b32_e32 v7, v8
	v_lshl_add_u64 v[6:7], v[6:7], 2, s[16:17]
	s_waitcnt lgkmcnt(0)
	flat_store_dword v[6:7], v3
	s_branch .LBB9_113
.LBB9_146:
	s_mov_b64 s[0:1], 0
.LBB9_147:
	s_andn2_b64 vcc, exec, s[0:1]
	s_cbranch_vccnz .LBB9_183
; %bb.148:
	s_andn2_b64 vcc, exec, s[24:25]
	s_cbranch_vccnz .LBB9_183
; %bb.149:
	s_ashr_i32 s7, s6, 31
	s_add_i32 s28, s5, 0xfffffe00
	s_add_i32 s24, s5, -1
	s_lshl_b64 s[0:1], s[6:7], 2
	s_add_u32 s2, s22, s0
	s_addc_u32 s3, s23, s1
	s_ashr_i32 s25, s24, 31
	s_lshl_b64 s[0:1], s[24:25], 2
	s_sub_u32 s0, s2, s0
	s_subb_u32 s1, s3, s1
	s_add_u32 s22, s20, s0
	s_addc_u32 s23, s21, s1
	s_lshl_b64 s[26:27], s[12:13], 2
	s_add_u32 s4, s26, 4
	s_addc_u32 s25, s27, 0
	s_sub_i32 s0, s6, s5
	s_add_i32 s33, s0, 0x1ff
	s_add_u32 s0, s10, s6
	s_addc_u32 s1, s11, s7
	s_ashr_i32 s3, s5, 31
	s_mov_b32 s2, s5
	s_lshl_b64 s[0:1], s[0:1], 2
	s_lshl_b64 s[2:3], s[2:3], 2
	s_sub_u32 s0, s0, s2
	s_subb_u32 s1, s1, s3
	s_add_u32 s0, s20, s0
	s_addc_u32 s1, s21, s1
	s_add_u32 s7, s0, 0x800
	s_addc_u32 s42, s1, 0
	s_lshl_b64 s[0:1], s[12:13], 3
	v_mov_b32_e32 v1, 0x1000
	v_add_u32_e32 v3, s5, v0
	s_add_u32 s10, s0, -8
	v_lshl_or_b32 v1, v0, 2, v1
	v_add_u32_e32 v2, 0xfffffe00, v3
	v_add_u32_e32 v12, 0xfffffc00, v3
	s_addc_u32 s11, s1, -1
	v_mov_b32_e32 v5, 0
	s_xor_b64 s[18:19], s[18:19], -1
	s_branch .LBB9_151
.LBB9_150:                              ;   in Loop: Header=BB9_151 Depth=1
	s_or_b64 exec, exec, s[20:21]
	s_addk_i32 s24, 0xfe00
	s_add_u32 s22, s22, 0x800
	s_addc_u32 s23, s23, 0
	s_addk_i32 s5, 0xfe00
	s_addk_i32 s33, 0x200
	s_add_u32 s7, s7, 0x800
	v_add_u32_e32 v2, 0xfffffe00, v2
	s_addc_u32 s42, s42, 0
	v_add_u32_e32 v12, 0xfffffe00, v12
	s_and_b64 vcc, exec, s[2:3]
	s_mov_b32 s28, s43
	s_waitcnt lgkmcnt(0)
	s_barrier
	s_cbranch_vccnz .LBB9_183
.LBB9_151:                              ; =>This Loop Header: Depth=1
                                        ;     Child Loop BB9_156 Depth 2
                                        ;     Child Loop BB9_165 Depth 2
                                        ;       Child Loop BB9_168 Depth 3
	v_add_u32_e32 v13, s28, v0
	v_cmp_gt_i32_e32 vcc, 0, v13
	v_cmp_lt_i32_e64 s[0:1], -1, v13
	s_and_saveexec_b64 s[2:3], s[0:1]
	s_cbranch_execz .LBB9_153
; %bb.152:                              ;   in Loop: Header=BB9_151 Depth=1
	v_mad_u64_u32 v[6:7], s[20:21], s8, v13, 0
	v_mov_b32_e32 v4, v7
	v_mad_u64_u32 v[8:9], s[20:21], s9, v13, v[4:5]
	v_mov_b32_e32 v7, v8
	v_lshl_add_u64 v[6:7], v[6:7], 2, s[16:17]
	flat_load_dword v3, v[6:7]
	s_waitcnt vmcnt(0) lgkmcnt(0)
	ds_write_b32 v1, v3
.LBB9_153:                              ;   in Loop: Header=BB9_151 Depth=1
	s_or_b64 exec, exec, s[2:3]
	v_mov_b32_e32 v3, v5
	v_mov_b64_e32 v[6:7], s[22:23]
	v_lshl_add_u64 v[8:9], v[2:3], 2, s[22:23]
	v_add_u32_e32 v3, s6, v13
	s_movk_i32 s29, 0x1ff
	s_movk_i32 s30, 0x17fc
	s_xor_b64 s[20:21], vcc, -1
	s_mov_b32 s31, s24
	s_waitcnt lgkmcnt(0)
	s_barrier
	s_branch .LBB9_156
.LBB9_154:                              ;   in Loop: Header=BB9_156 Depth=2
	s_or_b64 exec, exec, s[2:3]
	s_add_i32 s29, s29, -1
	s_add_i32 s30, s30, -4
	;; [unrolled: 1-line block ×3, first 2 shown]
	s_cmp_eq_u32 s29, -1
	v_lshl_add_u64 v[8:9], v[8:9], 0, 4
	v_lshl_add_u64 v[6:7], v[6:7], 0, 4
	s_cselect_b64 s[2:3], -1, 0
.LBB9_155:                              ;   in Loop: Header=BB9_156 Depth=2
	s_and_b64 vcc, exec, s[2:3]
	s_cbranch_vccnz .LBB9_161
.LBB9_156:                              ;   Parent Loop BB9_151 Depth=1
                                        ; =>  This Inner Loop Header: Depth=2
	s_add_i32 s34, s24, s29
	s_addk_i32 s34, 0xfe01
	s_cmp_lt_i32 s34, 0
	s_mov_b64 s[2:3], -1
	s_cbranch_scc1 .LBB9_155
; %bb.157:                              ;   in Loop: Header=BB9_156 Depth=2
	v_cmp_eq_u32_e32 vcc, s29, v0
	s_and_b64 s[36:37], s[18:19], vcc
	s_and_saveexec_b64 s[2:3], s[36:37]
	s_cbranch_execz .LBB9_159
; %bb.158:                              ;   in Loop: Header=BB9_156 Depth=2
	s_mul_i32 s35, s25, s31
	s_mul_hi_u32 s36, s4, s31
	s_add_i32 s37, s36, s35
	s_mul_i32 s36, s4, s31
	v_lshl_add_u64 v[10:11], v[6:7], 0, s[36:37]
	flat_load_dword v4, v[10:11]
	ds_read_b32 v10, v1
	s_waitcnt vmcnt(0) lgkmcnt(0)
	v_div_scale_f32 v11, s[36:37], v4, v4, v10
	v_rcp_f32_e32 v14, v11
	v_div_scale_f32 v15, vcc, v10, v4, v10
	v_fma_f32 v16, -v11, v14, 1.0
	v_fmac_f32_e32 v14, v16, v14
	v_mul_f32_e32 v16, v15, v14
	v_fma_f32 v17, -v11, v16, v15
	v_fmac_f32_e32 v16, v17, v14
	v_fma_f32 v11, -v11, v16, v15
	v_div_fmas_f32 v11, v11, v14, v16
	v_div_fixup_f32 v4, v11, v4, v10
	ds_write_b32 v1, v4
.LBB9_159:                              ;   in Loop: Header=BB9_156 Depth=2
	s_or_b64 exec, exec, s[2:3]
	v_cmp_gt_u32_e32 vcc, s29, v0
	v_cmp_le_i32_e64 s[2:3], s34, v3
	s_and_b64 s[34:35], s[20:21], vcc
	s_and_b64 s[34:35], s[34:35], s[2:3]
	s_waitcnt lgkmcnt(0)
	s_barrier
	s_and_saveexec_b64 s[2:3], s[34:35]
	s_cbranch_execz .LBB9_154
; %bb.160:                              ;   in Loop: Header=BB9_156 Depth=2
	v_mov_b32_e32 v4, s31
	v_mad_u64_u32 v[10:11], s[34:35], s26, v4, v[8:9]
	s_mul_i32 s34, s27, s31
	s_nop 0
	v_add_u32_e32 v11, s34, v11
	flat_load_dword v4, v[10:11]
	v_mov_b32_e32 v10, s30
	ds_read_b32 v10, v10
	ds_read_b32 v11, v1
	s_waitcnt vmcnt(0) lgkmcnt(0)
	v_fma_f32 v4, -v4, v10, v11
	ds_write_b32 v1, v4
	s_branch .LBB9_154
.LBB9_161:                              ;   in Loop: Header=BB9_151 Depth=1
	s_add_i32 s43, s28, 0xfffffe00
	s_cmp_lt_i32 s28, 1
	s_cselect_b64 s[2:3], -1, 0
	s_and_b64 vcc, exec, s[2:3]
	s_waitcnt lgkmcnt(0)
	s_barrier
	s_cbranch_vccnz .LBB9_181
; %bb.162:                              ;   in Loop: Header=BB9_151 Depth=1
	s_mul_i32 s20, s27, s28
	s_mul_hi_u32 s21, s26, s28
	s_add_i32 s21, s21, s20
	s_mul_i32 s20, s26, s28
	s_add_u32 s20, s7, s20
	s_addc_u32 s21, s42, s21
	s_mov_b64 s[28:29], 0
	v_mov_b32_e32 v6, v12
	v_mov_b32_e32 v3, v0
	s_mov_b32 s44, s43
                                        ; implicit-def: $sgpr30_sgpr31
	s_branch .LBB9_165
.LBB9_163:                              ;   in Loop: Header=BB9_165 Depth=2
	v_mad_u64_u32 v[8:9], s[36:37], s8, v4, 0
	v_mov_b32_e32 v10, v9
	v_mad_u64_u32 v[10:11], s[36:37], s9, v4, v[10:11]
	v_mov_b32_e32 v9, v10
	v_lshl_add_u64 v[8:9], v[8:9], 2, s[16:17]
	flat_load_dword v4, v[8:9]
	s_add_i32 s38, s44, 0xfffffe00
	s_cmp_lt_i32 s44, 1
	s_cselect_b64 s[36:37], -1, 0
	s_andn2_b64 s[30:31], s[30:31], exec
	s_and_b64 s[36:37], s[36:37], exec
	v_add_u32_e32 v6, 0xfffffe00, v6
	s_or_b64 s[30:31], s[30:31], s[36:37]
	s_mov_b32 s44, s38
	s_waitcnt vmcnt(0) lgkmcnt(0)
	v_sub_f32_e32 v4, v4, v7
	flat_store_dword v[8:9], v4
.LBB9_164:                              ;   in Loop: Header=BB9_165 Depth=2
	s_or_b64 exec, exec, s[34:35]
	s_and_b64 s[34:35], exec, s[30:31]
	s_or_b64 s[28:29], s[34:35], s[28:29]
	s_andn2_b64 exec, exec, s[28:29]
	s_cbranch_execz .LBB9_180
.LBB9_165:                              ;   Parent Loop BB9_151 Depth=1
                                        ; =>  This Loop Header: Depth=2
                                        ;       Child Loop BB9_168 Depth 3
	v_add_u32_e32 v4, s44, v0
	v_cmp_lt_i32_e32 vcc, -1, v4
	s_or_b64 s[30:31], s[30:31], exec
	s_and_saveexec_b64 s[34:35], vcc
	s_cbranch_execz .LBB9_164
; %bb.166:                              ;   in Loop: Header=BB9_165 Depth=2
	v_mov_b32_e32 v7, v5
	v_lshl_add_u64 v[8:9], v[6:7], 2, s[20:21]
	v_add_u32_e32 v14, s6, v4
	v_lshl_add_u64 v[10:11], v[4:5], 2, s[14:15]
	v_add_u32_e32 v15, 0xfffffdff, v3
	v_add_u32_e32 v3, 0xfffffe00, v3
	v_mov_b32_e32 v7, 0
	s_mov_b32 s45, 0
	s_movk_i32 s46, 0x1000
	s_mov_b32 s36, s33
	s_branch .LBB9_168
.LBB9_167:                              ;   in Loop: Header=BB9_168 Depth=3
	s_or_b64 exec, exec, s[38:39]
	s_add_i32 s45, s45, 2
	s_add_i32 s46, s46, 8
	s_add_i32 s36, s36, -2
	s_cmpk_eq_i32 s45, 0x200
	v_lshl_add_u64 v[8:9], v[8:9], 0, s[10:11]
	s_cbranch_scc1 .LBB9_163
.LBB9_168:                              ;   Parent Loop BB9_151 Depth=1
                                        ;     Parent Loop BB9_165 Depth=2
                                        ; =>    This Inner Loop Header: Depth=3
	v_cmp_ne_u32_e32 vcc, s45, v3
	s_add_i32 s37, s5, s45
	s_or_b64 s[38:39], s[18:19], vcc
	s_and_saveexec_b64 s[40:41], s[38:39]
	s_xor_b64 s[38:39], exec, s[40:41]
	s_cbranch_execz .LBB9_172
; %bb.169:                              ;   in Loop: Header=BB9_168 Depth=3
	s_add_i32 s40, s37, 0xfffffe00
	v_cmp_le_i32_e32 vcc, s40, v14
	s_and_saveexec_b64 s[40:41], vcc
	s_cbranch_execz .LBB9_171
; %bb.170:                              ;   in Loop: Header=BB9_168 Depth=3
	flat_load_dword v16, v[8:9]
	v_mov_b32_e32 v17, s46
	ds_read_b32 v17, v17
	s_waitcnt vmcnt(0) lgkmcnt(0)
	v_fmac_f32_e32 v7, v16, v17
.LBB9_171:                              ;   in Loop: Header=BB9_168 Depth=3
	s_or_b64 exec, exec, s[40:41]
.LBB9_172:                              ;   in Loop: Header=BB9_168 Depth=3
	s_andn2_saveexec_b64 s[38:39], s[38:39]
	s_cbranch_execz .LBB9_174
; %bb.173:                              ;   in Loop: Header=BB9_168 Depth=3
	v_mov_b32_e32 v16, s46
	ds_read_b32 v16, v16
	s_waitcnt lgkmcnt(0)
	v_add_f32_e32 v7, v7, v16
.LBB9_174:                              ;   in Loop: Header=BB9_168 Depth=3
	s_or_b64 exec, exec, s[38:39]
	v_cmp_ne_u32_e32 vcc, s45, v15
	s_or_b64 s[38:39], s[18:19], vcc
	s_and_saveexec_b64 s[40:41], s[38:39]
	s_xor_b64 s[38:39], exec, s[40:41]
	s_cbranch_execz .LBB9_178
; %bb.175:                              ;   in Loop: Header=BB9_168 Depth=3
	s_add_i32 s47, s37, 0xfffffe01
	v_cmp_le_i32_e32 vcc, s47, v14
	s_and_saveexec_b64 s[40:41], vcc
	s_cbranch_execz .LBB9_177
; %bb.176:                              ;   in Loop: Header=BB9_168 Depth=3
	s_mul_i32 s48, s13, s47
	s_mul_hi_u32 s49, s12, s47
	s_add_i32 s49, s49, s48
	s_mul_i32 s48, s12, s47
	s_ashr_i32 s37, s36, 31
	v_lshl_add_u64 v[16:17], s[48:49], 2, v[10:11]
	v_lshl_add_u64 v[16:17], s[36:37], 2, v[16:17]
	flat_load_dword v16, v[16:17]
	v_mov_b32_e32 v17, s46
	ds_read_b32 v17, v17 offset:4
	s_waitcnt vmcnt(0) lgkmcnt(0)
	v_fmac_f32_e32 v7, v16, v17
.LBB9_177:                              ;   in Loop: Header=BB9_168 Depth=3
	s_or_b64 exec, exec, s[40:41]
.LBB9_178:                              ;   in Loop: Header=BB9_168 Depth=3
	s_andn2_saveexec_b64 s[38:39], s[38:39]
	s_cbranch_execz .LBB9_167
; %bb.179:                              ;   in Loop: Header=BB9_168 Depth=3
	v_mov_b32_e32 v16, s46
	ds_read_b32 v16, v16 offset:4
	s_waitcnt lgkmcnt(0)
	v_add_f32_e32 v7, v7, v16
	s_branch .LBB9_167
.LBB9_180:                              ;   in Loop: Header=BB9_151 Depth=1
	s_or_b64 exec, exec, s[28:29]
.LBB9_181:                              ;   in Loop: Header=BB9_151 Depth=1
	s_and_saveexec_b64 s[20:21], s[0:1]
	s_cbranch_execz .LBB9_150
; %bb.182:                              ;   in Loop: Header=BB9_151 Depth=1
	ds_read_b32 v3, v1
	v_mad_u64_u32 v[6:7], s[0:1], s8, v13, 0
	v_mov_b32_e32 v4, v7
	v_mad_u64_u32 v[8:9], s[0:1], s9, v13, v[4:5]
	v_mov_b32_e32 v7, v8
	v_lshl_add_u64 v[6:7], v[6:7], 2, s[16:17]
	s_waitcnt lgkmcnt(0)
	flat_store_dword v[6:7], v3
	s_branch .LBB9_150
.LBB9_183:
	s_endpgm
	.section	.rodata,"a",@progbits
	.p2align	6, 0x0
	.amdhsa_kernel _ZL19rocblas_tbsv_kernelILb0ELi512EPKPKfPKPfEv18rocblas_operation_bbiiT1_lllT2_lll
		.amdhsa_group_segment_fixed_size 8192
		.amdhsa_private_segment_fixed_size 0
		.amdhsa_kernarg_size 80
		.amdhsa_user_sgpr_count 2
		.amdhsa_user_sgpr_dispatch_ptr 0
		.amdhsa_user_sgpr_queue_ptr 0
		.amdhsa_user_sgpr_kernarg_segment_ptr 1
		.amdhsa_user_sgpr_dispatch_id 0
		.amdhsa_user_sgpr_kernarg_preload_length 0
		.amdhsa_user_sgpr_kernarg_preload_offset 0
		.amdhsa_user_sgpr_private_segment_size 0
		.amdhsa_uses_dynamic_stack 0
		.amdhsa_enable_private_segment 0
		.amdhsa_system_sgpr_workgroup_id_x 1
		.amdhsa_system_sgpr_workgroup_id_y 0
		.amdhsa_system_sgpr_workgroup_id_z 0
		.amdhsa_system_sgpr_workgroup_info 0
		.amdhsa_system_vgpr_workitem_id 0
		.amdhsa_next_free_vgpr 21
		.amdhsa_next_free_sgpr 68
		.amdhsa_accum_offset 24
		.amdhsa_reserve_vcc 1
		.amdhsa_float_round_mode_32 0
		.amdhsa_float_round_mode_16_64 0
		.amdhsa_float_denorm_mode_32 3
		.amdhsa_float_denorm_mode_16_64 3
		.amdhsa_dx10_clamp 1
		.amdhsa_ieee_mode 1
		.amdhsa_fp16_overflow 0
		.amdhsa_tg_split 0
		.amdhsa_exception_fp_ieee_invalid_op 0
		.amdhsa_exception_fp_denorm_src 0
		.amdhsa_exception_fp_ieee_div_zero 0
		.amdhsa_exception_fp_ieee_overflow 0
		.amdhsa_exception_fp_ieee_underflow 0
		.amdhsa_exception_fp_ieee_inexact 0
		.amdhsa_exception_int_div_zero 0
	.end_amdhsa_kernel
	.section	.text._ZL19rocblas_tbsv_kernelILb0ELi512EPKPKfPKPfEv18rocblas_operation_bbiiT1_lllT2_lll,"axG",@progbits,_ZL19rocblas_tbsv_kernelILb0ELi512EPKPKfPKPfEv18rocblas_operation_bbiiT1_lllT2_lll,comdat
.Lfunc_end9:
	.size	_ZL19rocblas_tbsv_kernelILb0ELi512EPKPKfPKPfEv18rocblas_operation_bbiiT1_lllT2_lll, .Lfunc_end9-_ZL19rocblas_tbsv_kernelILb0ELi512EPKPKfPKPfEv18rocblas_operation_bbiiT1_lllT2_lll
                                        ; -- End function
	.set _ZL19rocblas_tbsv_kernelILb0ELi512EPKPKfPKPfEv18rocblas_operation_bbiiT1_lllT2_lll.num_vgpr, 21
	.set _ZL19rocblas_tbsv_kernelILb0ELi512EPKPKfPKPfEv18rocblas_operation_bbiiT1_lllT2_lll.num_agpr, 0
	.set _ZL19rocblas_tbsv_kernelILb0ELi512EPKPKfPKPfEv18rocblas_operation_bbiiT1_lllT2_lll.numbered_sgpr, 68
	.set _ZL19rocblas_tbsv_kernelILb0ELi512EPKPKfPKPfEv18rocblas_operation_bbiiT1_lllT2_lll.num_named_barrier, 0
	.set _ZL19rocblas_tbsv_kernelILb0ELi512EPKPKfPKPfEv18rocblas_operation_bbiiT1_lllT2_lll.private_seg_size, 0
	.set _ZL19rocblas_tbsv_kernelILb0ELi512EPKPKfPKPfEv18rocblas_operation_bbiiT1_lllT2_lll.uses_vcc, 1
	.set _ZL19rocblas_tbsv_kernelILb0ELi512EPKPKfPKPfEv18rocblas_operation_bbiiT1_lllT2_lll.uses_flat_scratch, 0
	.set _ZL19rocblas_tbsv_kernelILb0ELi512EPKPKfPKPfEv18rocblas_operation_bbiiT1_lllT2_lll.has_dyn_sized_stack, 0
	.set _ZL19rocblas_tbsv_kernelILb0ELi512EPKPKfPKPfEv18rocblas_operation_bbiiT1_lllT2_lll.has_recursion, 0
	.set _ZL19rocblas_tbsv_kernelILb0ELi512EPKPKfPKPfEv18rocblas_operation_bbiiT1_lllT2_lll.has_indirect_call, 0
	.section	.AMDGPU.csdata,"",@progbits
; Kernel info:
; codeLenInByte = 6156
; TotalNumSgprs: 74
; NumVgprs: 21
; NumAgprs: 0
; TotalNumVgprs: 21
; ScratchSize: 0
; MemoryBound: 0
; FloatMode: 240
; IeeeMode: 1
; LDSByteSize: 8192 bytes/workgroup (compile time only)
; SGPRBlocks: 9
; VGPRBlocks: 2
; NumSGPRsForWavesPerEU: 74
; NumVGPRsForWavesPerEU: 21
; AccumOffset: 24
; Occupancy: 8
; WaveLimiterHint : 1
; COMPUTE_PGM_RSRC2:SCRATCH_EN: 0
; COMPUTE_PGM_RSRC2:USER_SGPR: 2
; COMPUTE_PGM_RSRC2:TRAP_HANDLER: 0
; COMPUTE_PGM_RSRC2:TGID_X_EN: 1
; COMPUTE_PGM_RSRC2:TGID_Y_EN: 0
; COMPUTE_PGM_RSRC2:TGID_Z_EN: 0
; COMPUTE_PGM_RSRC2:TIDIG_COMP_CNT: 0
; COMPUTE_PGM_RSRC3_GFX90A:ACCUM_OFFSET: 5
; COMPUTE_PGM_RSRC3_GFX90A:TG_SPLIT: 0
	.section	.text._ZL19rocblas_tbsv_kernelILb1ELi512EPKPKdPKPdEv18rocblas_operation_bbiiT1_lllT2_lll,"axG",@progbits,_ZL19rocblas_tbsv_kernelILb1ELi512EPKPKdPKPdEv18rocblas_operation_bbiiT1_lllT2_lll,comdat
	.globl	_ZL19rocblas_tbsv_kernelILb1ELi512EPKPKdPKPdEv18rocblas_operation_bbiiT1_lllT2_lll ; -- Begin function _ZL19rocblas_tbsv_kernelILb1ELi512EPKPKdPKPdEv18rocblas_operation_bbiiT1_lllT2_lll
	.p2align	8
	.type	_ZL19rocblas_tbsv_kernelILb1ELi512EPKPKdPKPdEv18rocblas_operation_bbiiT1_lllT2_lll,@function
_ZL19rocblas_tbsv_kernelILb1ELi512EPKPKdPKPdEv18rocblas_operation_bbiiT1_lllT2_lll: ; @_ZL19rocblas_tbsv_kernelILb1ELi512EPKPKdPKPdEv18rocblas_operation_bbiiT1_lllT2_lll
; %bb.0:
	s_load_dwordx2 s[34:35], s[0:1], 0x0
	s_load_dwordx4 s[4:7], s[0:1], 0x4
	s_load_dwordx4 s[8:11], s[0:1], 0x10
	s_load_dwordx2 s[12:13], s[0:1], 0x20
	s_mov_b32 s3, 0
	s_waitcnt lgkmcnt(0)
	s_bitcmp1_b32 s35, 0
	s_cselect_b64 s[14:15], -1, 0
	s_xor_b64 s[26:27], s[14:15], -1
	s_bitcmp1_b32 s4, 8
	s_cselect_b64 s[18:19], -1, 0
	s_lshl_b64 s[2:3], s[2:3], 3
	s_add_u32 s14, s8, s2
	s_addc_u32 s15, s9, s3
	s_load_dwordx2 s[20:21], s[14:15], 0x0
	s_load_dwordx4 s[28:31], s[0:1], 0x30
	s_load_dwordx2 s[8:9], s[0:1], 0x40
	s_lshl_b64 s[22:23], s[10:11], 3
	s_waitcnt lgkmcnt(0)
	s_add_u32 s14, s20, s22
	s_addc_u32 s15, s21, s23
	s_add_u32 s0, s28, s2
	s_addc_u32 s1, s29, s3
	s_load_dwordx2 s[0:1], s[0:1], 0x0
	s_lshl_b64 s[2:3], s[30:31], 3
	s_waitcnt lgkmcnt(0)
	s_add_u32 s16, s0, s2
	s_addc_u32 s17, s1, s3
	s_cmp_gt_i32 s5, 0
	s_cselect_b64 s[24:25], -1, 0
	s_cmpk_lg_i32 s34, 0x6f
	s_mov_b64 s[0:1], -1
	s_cbranch_scc0 .LBB10_109
; %bb.1:
	s_and_b64 vcc, exec, s[26:27]
	s_cbranch_vccz .LBB10_55
; %bb.2:
	s_andn2_b64 vcc, exec, s[24:25]
	s_cbranch_vccnz .LBB10_54
; %bb.3:
	s_ashr_i32 s1, s5, 31
	s_mov_b32 s0, s5
	s_add_i32 s33, s5, 0xfffffe00
	s_lshl_b64 s[0:1], s[0:1], 3
	s_add_u32 s0, s22, s0
	s_addc_u32 s1, s23, s1
	s_add_u32 s0, s20, s0
	s_addc_u32 s1, s21, s1
	v_mov_b32_e32 v1, 0x3000
	s_add_u32 s28, s0, 0xfffff000
	v_add_u32_e32 v2, s5, v0
	v_lshl_or_b32 v1, v0, 3, v1
	v_sub_u32_e32 v10, 0, v0
	v_add_u32_e32 v11, 0xfffffe01, v0
	s_addc_u32 s29, s1, -1
	v_add_u32_e32 v12, 0xfffffc00, v2
	s_lshl_b64 s[30:31], s[12:13], 3
	s_xor_b64 s[34:35], s[18:19], -1
	v_mov_b32_e32 v3, 0
	s_mov_b64 s[36:37], 0x1000
	s_mov_b32 s4, s5
	s_branch .LBB10_5
.LBB10_4:                               ;   in Loop: Header=BB10_5 Depth=1
	s_or_b64 exec, exec, s[38:39]
	s_addk_i32 s4, 0xfe00
	s_add_u32 s28, s28, 0xfffff000
	s_addc_u32 s29, s29, -1
	v_add_u32_e32 v12, 0xfffffe00, v12
	s_andn2_b64 vcc, exec, s[2:3]
	s_mov_b32 s33, s7
	s_waitcnt lgkmcnt(0)
	s_barrier
	s_cbranch_vccz .LBB10_54
.LBB10_5:                               ; =>This Loop Header: Depth=1
                                        ;     Child Loop BB10_10 Depth 2
                                        ;     Child Loop BB10_24 Depth 2
                                        ;       Child Loop BB10_27 Depth 3
	v_add_u32_e32 v13, s33, v0
	v_cmp_gt_i32_e32 vcc, 0, v13
	v_cmp_lt_i32_e64 s[0:1], -1, v13
	s_and_saveexec_b64 s[2:3], s[0:1]
	s_cbranch_execz .LBB10_7
; %bb.6:                                ;   in Loop: Header=BB10_5 Depth=1
	v_mad_u64_u32 v[4:5], s[38:39], s8, v13, 0
	v_mov_b32_e32 v2, v5
	v_mad_u64_u32 v[6:7], s[38:39], s9, v13, v[2:3]
	v_mov_b32_e32 v5, v6
	v_lshl_add_u64 v[4:5], v[4:5], 3, s[16:17]
	flat_load_dwordx2 v[4:5], v[4:5]
	s_waitcnt vmcnt(0) lgkmcnt(0)
	ds_write_b64 v1, v[4:5]
.LBB10_7:                               ;   in Loop: Header=BB10_5 Depth=1
	s_or_b64 exec, exec, s[2:3]
	v_ashrrev_i32_e32 v2, 31, v13
	v_mul_lo_u32 v7, s13, v13
	v_mul_lo_u32 v2, s12, v2
	v_mad_u64_u32 v[4:5], s[2:3], s12, v13, 0
	v_add3_u32 v5, v5, v2, v7
	v_add_u32_e32 v6, s6, v13
	v_lshl_add_u64 v[4:5], v[4:5], 3, s[14:15]
	s_movk_i32 s7, 0x1ff
	s_mov_b32 s40, 0
	s_movk_i32 s41, 0x3ff0
	s_xor_b64 s[38:39], vcc, -1
	s_waitcnt lgkmcnt(0)
	s_barrier
	s_branch .LBB10_10
.LBB10_8:                               ;   in Loop: Header=BB10_10 Depth=2
	s_or_b64 exec, exec, s[2:3]
	s_add_i32 s7, s7, -2
	s_add_i32 s40, s40, -2
	;; [unrolled: 1-line block ×3, first 2 shown]
	s_cmp_eq_u32 s42, 0
	s_cselect_b64 s[2:3], -1, 0
.LBB10_9:                               ;   in Loop: Header=BB10_10 Depth=2
	s_and_b64 vcc, exec, s[2:3]
	s_cbranch_vccnz .LBB10_20
.LBB10_10:                              ;   Parent Loop BB10_5 Depth=1
                                        ; =>  This Inner Loop Header: Depth=2
	s_add_i32 s42, s4, s40
	s_add_i32 s43, s42, -1
	s_cmp_lt_i32 s43, 0
	s_mov_b64 s[2:3], -1
	s_cbranch_scc1 .LBB10_9
; %bb.11:                               ;   in Loop: Header=BB10_10 Depth=2
	v_cmp_eq_u32_e32 vcc, s40, v11
	s_and_b64 s[44:45], s[34:35], vcc
	s_and_saveexec_b64 s[2:3], s[44:45]
	s_cbranch_execz .LBB10_13
; %bb.12:                               ;   in Loop: Header=BB10_10 Depth=2
	s_mul_i32 s44, s13, s43
	s_mul_hi_u32 s45, s12, s43
	s_add_i32 s45, s45, s44
	s_mul_i32 s44, s12, s43
	s_lshl_b64 s[44:45], s[44:45], 3
	s_add_u32 s44, s14, s44
	s_addc_u32 s45, s15, s45
	v_mov_b64_e32 v[8:9], s[44:45]
	flat_load_dwordx2 v[8:9], v[8:9]
	ds_read_b64 v[14:15], v1
	s_waitcnt vmcnt(0) lgkmcnt(0)
	v_div_scale_f64 v[16:17], s[44:45], v[8:9], v[8:9], v[14:15]
	v_rcp_f64_e32 v[18:19], v[16:17]
	v_div_scale_f64 v[20:21], vcc, v[14:15], v[8:9], v[14:15]
	v_fma_f64 v[22:23], -v[16:17], v[18:19], 1.0
	v_fmac_f64_e32 v[18:19], v[18:19], v[22:23]
	v_fma_f64 v[22:23], -v[16:17], v[18:19], 1.0
	v_fmac_f64_e32 v[18:19], v[18:19], v[22:23]
	v_mul_f64 v[22:23], v[20:21], v[18:19]
	v_fma_f64 v[16:17], -v[16:17], v[22:23], v[20:21]
	v_div_fmas_f64 v[16:17], v[16:17], v[18:19], v[22:23]
	v_div_fixup_f64 v[8:9], v[16:17], v[8:9], v[14:15]
	ds_write_b64 v1, v[8:9]
.LBB10_13:                              ;   in Loop: Header=BB10_10 Depth=2
	s_or_b64 exec, exec, s[2:3]
	v_cmp_gt_u32_e32 vcc, s7, v0
	v_cmp_le_i32_e64 s[2:3], s43, v6
	s_and_b64 s[44:45], s[38:39], vcc
	s_and_b64 s[44:45], s[44:45], s[2:3]
	s_waitcnt lgkmcnt(0)
	s_barrier
	s_and_saveexec_b64 s[2:3], s[44:45]
	s_cbranch_execz .LBB10_15
; %bb.14:                               ;   in Loop: Header=BB10_10 Depth=2
	v_add_u32_e32 v2, s40, v10
	v_add_u32_e32 v2, 0x1ff, v2
	v_lshl_add_u64 v[8:9], v[2:3], 3, v[4:5]
	flat_load_dwordx2 v[8:9], v[8:9]
	v_mov_b32_e32 v2, s41
	ds_read_b64 v[14:15], v2 offset:8
	ds_read_b64 v[16:17], v1
	s_waitcnt vmcnt(0) lgkmcnt(0)
	v_fma_f64 v[8:9], -v[8:9], v[14:15], v[16:17]
	ds_write_b64 v1, v[8:9]
.LBB10_15:                              ;   in Loop: Header=BB10_10 Depth=2
	s_or_b64 exec, exec, s[2:3]
	s_add_i32 s43, s42, -2
	s_cmp_lt_i32 s43, 0
	s_mov_b64 s[2:3], -1
	s_cbranch_scc1 .LBB10_9
; %bb.16:                               ;   in Loop: Header=BB10_10 Depth=2
	s_add_i32 s42, s7, -1
	v_cmp_eq_u32_e32 vcc, s42, v0
	s_and_b64 s[44:45], s[34:35], vcc
	s_and_saveexec_b64 s[2:3], s[44:45]
	s_cbranch_execz .LBB10_18
; %bb.17:                               ;   in Loop: Header=BB10_10 Depth=2
	s_mul_i32 s44, s13, s43
	s_mul_hi_u32 s45, s12, s43
	s_add_i32 s45, s45, s44
	s_mul_i32 s44, s12, s43
	s_lshl_b64 s[44:45], s[44:45], 3
	s_add_u32 s44, s14, s44
	s_addc_u32 s45, s15, s45
	v_mov_b64_e32 v[8:9], s[44:45]
	flat_load_dwordx2 v[8:9], v[8:9]
	ds_read_b64 v[14:15], v1
	s_waitcnt vmcnt(0) lgkmcnt(0)
	v_div_scale_f64 v[16:17], s[44:45], v[8:9], v[8:9], v[14:15]
	v_rcp_f64_e32 v[18:19], v[16:17]
	v_div_scale_f64 v[20:21], vcc, v[14:15], v[8:9], v[14:15]
	v_fma_f64 v[22:23], -v[16:17], v[18:19], 1.0
	v_fmac_f64_e32 v[18:19], v[18:19], v[22:23]
	v_fma_f64 v[22:23], -v[16:17], v[18:19], 1.0
	v_fmac_f64_e32 v[18:19], v[18:19], v[22:23]
	v_mul_f64 v[22:23], v[20:21], v[18:19]
	v_fma_f64 v[16:17], -v[16:17], v[22:23], v[20:21]
	v_div_fmas_f64 v[16:17], v[16:17], v[18:19], v[22:23]
	v_div_fixup_f64 v[8:9], v[16:17], v[8:9], v[14:15]
	ds_write_b64 v1, v[8:9]
.LBB10_18:                              ;   in Loop: Header=BB10_10 Depth=2
	s_or_b64 exec, exec, s[2:3]
	v_cmp_gt_u32_e32 vcc, s42, v0
	v_cmp_le_i32_e64 s[2:3], s43, v6
	s_and_b64 s[44:45], s[38:39], vcc
	s_and_b64 s[44:45], s[44:45], s[2:3]
	s_waitcnt lgkmcnt(0)
	s_barrier
	s_and_saveexec_b64 s[2:3], s[44:45]
	s_cbranch_execz .LBB10_8
; %bb.19:                               ;   in Loop: Header=BB10_10 Depth=2
	v_add_u32_e32 v2, s40, v10
	v_add_u32_e32 v2, 0x1fe, v2
	v_lshl_add_u64 v[8:9], v[2:3], 3, v[4:5]
	flat_load_dwordx2 v[8:9], v[8:9]
	v_mov_b32_e32 v2, s41
	ds_read_b64 v[14:15], v2
	ds_read_b64 v[16:17], v1
	s_waitcnt vmcnt(0) lgkmcnt(0)
	v_fma_f64 v[8:9], -v[8:9], v[14:15], v[16:17]
	ds_write_b64 v1, v[8:9]
	s_branch .LBB10_8
.LBB10_20:                              ;   in Loop: Header=BB10_5 Depth=1
	s_add_i32 s7, s33, 0xfffffe00
	s_cmp_lt_i32 s33, 1
	s_cselect_b64 s[2:3], -1, 0
	s_and_b64 vcc, exec, s[2:3]
	s_waitcnt lgkmcnt(0)
	s_barrier
	s_cbranch_vccnz .LBB10_52
; %bb.21:                               ;   in Loop: Header=BB10_5 Depth=1
	v_mad_i64_i32 v[4:5], s[38:39], v12, -8, s[28:29]
	s_mov_b64 s[38:39], 0
	v_mov_b32_e32 v2, v12
	v_mov_b32_e32 v14, v0
	s_mov_b32 s33, s7
                                        ; implicit-def: $sgpr40_sgpr41
	s_branch .LBB10_24
.LBB10_22:                              ;   in Loop: Header=BB10_24 Depth=2
	v_mad_u64_u32 v[8:9], s[44:45], s8, v15, 0
	v_mov_b32_e32 v16, v9
	v_mad_u64_u32 v[16:17], s[44:45], s9, v15, v[16:17]
	v_mov_b32_e32 v9, v16
	v_lshl_add_u64 v[8:9], v[8:9], 3, s[16:17]
	flat_load_dwordx2 v[16:17], v[8:9]
	s_add_i32 s46, s33, 0xfffffe00
	s_cmp_lt_i32 s33, 1
	s_cselect_b64 s[44:45], -1, 0
	s_andn2_b64 s[40:41], s[40:41], exec
	s_and_b64 s[44:45], s[44:45], exec
	v_lshl_add_u64 v[4:5], v[4:5], 0, s[36:37]
	v_add_u32_e32 v2, 0xfffffe00, v2
	s_or_b64 s[40:41], s[40:41], s[44:45]
	s_mov_b32 s33, s46
	s_waitcnt vmcnt(0) lgkmcnt(0)
	v_add_f64 v[6:7], v[16:17], -v[6:7]
	flat_store_dwordx2 v[8:9], v[6:7]
.LBB10_23:                              ;   in Loop: Header=BB10_24 Depth=2
	s_or_b64 exec, exec, s[42:43]
	s_and_b64 s[42:43], exec, s[40:41]
	s_or_b64 s[38:39], s[42:43], s[38:39]
	s_andn2_b64 exec, exec, s[38:39]
	s_cbranch_execz .LBB10_51
.LBB10_24:                              ;   Parent Loop BB10_5 Depth=1
                                        ; =>  This Loop Header: Depth=2
                                        ;       Child Loop BB10_27 Depth 3
	v_add_u32_e32 v15, s33, v0
	v_cmp_lt_i32_e32 vcc, -1, v15
	s_or_b64 s[40:41], s[40:41], exec
	s_and_saveexec_b64 s[42:43], vcc
	s_cbranch_execz .LBB10_23
; %bb.25:                               ;   in Loop: Header=BB10_24 Depth=2
	v_mad_u64_u32 v[8:9], s[44:45], s30, v2, v[4:5]
	v_mov_b32_e32 v6, v9
	v_mad_u64_u32 v[6:7], s[44:45], s31, v2, v[6:7]
	v_mov_b32_e32 v9, v6
	v_add_u32_e32 v16, s6, v15
	v_add_u32_e32 v17, 0xfffffdfd, v14
	v_add_u32_e32 v18, 0xfffffdfe, v14
	v_add_u32_e32 v19, 0xfffffdff, v14
	v_add_u32_e32 v14, 0xfffffe00, v14
	v_mov_b64_e32 v[6:7], 0
	s_mov_b32 s48, 0
	s_movk_i32 s49, 0x3000
	s_branch .LBB10_27
.LBB10_26:                              ;   in Loop: Header=BB10_27 Depth=3
	s_or_b64 exec, exec, s[44:45]
	s_add_i32 s48, s48, 4
	s_add_i32 s49, s49, 32
	s_cmpk_eq_i32 s48, 0x200
	v_lshl_add_u64 v[8:9], v[8:9], 0, 32
	s_cbranch_scc1 .LBB10_22
.LBB10_27:                              ;   Parent Loop BB10_5 Depth=1
                                        ;     Parent Loop BB10_24 Depth=2
                                        ; =>    This Inner Loop Header: Depth=3
	v_cmp_ne_u32_e32 vcc, s48, v14
	s_add_i32 s50, s4, s48
	s_or_b64 s[44:45], s[34:35], vcc
	s_and_saveexec_b64 s[46:47], s[44:45]
	s_xor_b64 s[44:45], exec, s[46:47]
	s_cbranch_execz .LBB10_31
; %bb.28:                               ;   in Loop: Header=BB10_27 Depth=3
	s_add_i32 s46, s50, 0xfffffe00
	v_cmp_le_i32_e32 vcc, s46, v16
	s_and_saveexec_b64 s[46:47], vcc
	s_cbranch_execz .LBB10_30
; %bb.29:                               ;   in Loop: Header=BB10_27 Depth=3
	flat_load_dwordx2 v[20:21], v[8:9]
	v_mov_b32_e32 v22, s49
	ds_read_b64 v[22:23], v22
	s_waitcnt vmcnt(0) lgkmcnt(0)
	v_fmac_f64_e32 v[6:7], v[20:21], v[22:23]
.LBB10_30:                              ;   in Loop: Header=BB10_27 Depth=3
	s_or_b64 exec, exec, s[46:47]
.LBB10_31:                              ;   in Loop: Header=BB10_27 Depth=3
	s_andn2_saveexec_b64 s[44:45], s[44:45]
	s_cbranch_execz .LBB10_33
; %bb.32:                               ;   in Loop: Header=BB10_27 Depth=3
	v_mov_b32_e32 v20, s49
	ds_read_b64 v[20:21], v20
	s_waitcnt lgkmcnt(0)
	v_add_f64 v[6:7], v[6:7], v[20:21]
.LBB10_33:                              ;   in Loop: Header=BB10_27 Depth=3
	s_or_b64 exec, exec, s[44:45]
	v_cmp_ne_u32_e32 vcc, s48, v19
	s_or_b64 s[44:45], s[34:35], vcc
	s_and_saveexec_b64 s[46:47], s[44:45]
	s_xor_b64 s[44:45], exec, s[46:47]
	s_cbranch_execz .LBB10_37
; %bb.34:                               ;   in Loop: Header=BB10_27 Depth=3
	s_add_i32 s46, s50, 0xfffffe01
	v_cmp_le_i32_e32 vcc, s46, v16
	s_and_saveexec_b64 s[46:47], vcc
	s_cbranch_execz .LBB10_36
; %bb.35:                               ;   in Loop: Header=BB10_27 Depth=3
	flat_load_dwordx2 v[20:21], v[8:9] offset:8
	v_mov_b32_e32 v22, s49
	ds_read_b64 v[22:23], v22 offset:8
	s_waitcnt vmcnt(0) lgkmcnt(0)
	v_fmac_f64_e32 v[6:7], v[20:21], v[22:23]
.LBB10_36:                              ;   in Loop: Header=BB10_27 Depth=3
	s_or_b64 exec, exec, s[46:47]
.LBB10_37:                              ;   in Loop: Header=BB10_27 Depth=3
	s_andn2_saveexec_b64 s[44:45], s[44:45]
	s_cbranch_execz .LBB10_39
; %bb.38:                               ;   in Loop: Header=BB10_27 Depth=3
	v_mov_b32_e32 v20, s49
	ds_read_b64 v[20:21], v20 offset:8
	s_waitcnt lgkmcnt(0)
	v_add_f64 v[6:7], v[6:7], v[20:21]
.LBB10_39:                              ;   in Loop: Header=BB10_27 Depth=3
	s_or_b64 exec, exec, s[44:45]
	v_cmp_ne_u32_e32 vcc, s48, v18
	s_or_b64 s[44:45], s[34:35], vcc
	s_and_saveexec_b64 s[46:47], s[44:45]
	s_xor_b64 s[44:45], exec, s[46:47]
	s_cbranch_execz .LBB10_43
; %bb.40:                               ;   in Loop: Header=BB10_27 Depth=3
	s_add_i32 s46, s50, 0xfffffe02
	v_cmp_le_i32_e32 vcc, s46, v16
	s_and_saveexec_b64 s[46:47], vcc
	s_cbranch_execz .LBB10_42
; %bb.41:                               ;   in Loop: Header=BB10_27 Depth=3
	flat_load_dwordx2 v[20:21], v[8:9] offset:16
	v_mov_b32_e32 v22, s49
	ds_read_b64 v[22:23], v22 offset:16
	s_waitcnt vmcnt(0) lgkmcnt(0)
	v_fmac_f64_e32 v[6:7], v[20:21], v[22:23]
.LBB10_42:                              ;   in Loop: Header=BB10_27 Depth=3
	s_or_b64 exec, exec, s[46:47]
.LBB10_43:                              ;   in Loop: Header=BB10_27 Depth=3
	s_andn2_saveexec_b64 s[44:45], s[44:45]
	s_cbranch_execz .LBB10_45
; %bb.44:                               ;   in Loop: Header=BB10_27 Depth=3
	v_mov_b32_e32 v20, s49
	ds_read_b64 v[20:21], v20 offset:16
	s_waitcnt lgkmcnt(0)
	v_add_f64 v[6:7], v[6:7], v[20:21]
.LBB10_45:                              ;   in Loop: Header=BB10_27 Depth=3
	s_or_b64 exec, exec, s[44:45]
	v_cmp_ne_u32_e32 vcc, s48, v17
	s_or_b64 s[44:45], s[34:35], vcc
	s_and_saveexec_b64 s[46:47], s[44:45]
	s_xor_b64 s[44:45], exec, s[46:47]
	s_cbranch_execz .LBB10_49
; %bb.46:                               ;   in Loop: Header=BB10_27 Depth=3
	s_addk_i32 s50, 0xfe03
	v_cmp_le_i32_e32 vcc, s50, v16
	s_and_saveexec_b64 s[46:47], vcc
	s_cbranch_execz .LBB10_48
; %bb.47:                               ;   in Loop: Header=BB10_27 Depth=3
	flat_load_dwordx2 v[20:21], v[8:9] offset:24
	v_mov_b32_e32 v22, s49
	ds_read_b64 v[22:23], v22 offset:24
	s_waitcnt vmcnt(0) lgkmcnt(0)
	v_fmac_f64_e32 v[6:7], v[20:21], v[22:23]
.LBB10_48:                              ;   in Loop: Header=BB10_27 Depth=3
	s_or_b64 exec, exec, s[46:47]
.LBB10_49:                              ;   in Loop: Header=BB10_27 Depth=3
	s_andn2_saveexec_b64 s[44:45], s[44:45]
	s_cbranch_execz .LBB10_26
; %bb.50:                               ;   in Loop: Header=BB10_27 Depth=3
	v_mov_b32_e32 v20, s49
	ds_read_b64 v[20:21], v20 offset:24
	s_waitcnt lgkmcnt(0)
	v_add_f64 v[6:7], v[6:7], v[20:21]
	s_branch .LBB10_26
.LBB10_51:                              ;   in Loop: Header=BB10_5 Depth=1
	s_or_b64 exec, exec, s[38:39]
.LBB10_52:                              ;   in Loop: Header=BB10_5 Depth=1
	s_and_saveexec_b64 s[38:39], s[0:1]
	s_cbranch_execz .LBB10_4
; %bb.53:                               ;   in Loop: Header=BB10_5 Depth=1
	ds_read_b64 v[4:5], v1
	v_mad_u64_u32 v[6:7], s[0:1], s8, v13, 0
	v_mov_b32_e32 v2, v7
	v_mad_u64_u32 v[8:9], s[0:1], s9, v13, v[2:3]
	v_mov_b32_e32 v7, v8
	v_lshl_add_u64 v[6:7], v[6:7], 3, s[16:17]
	s_waitcnt lgkmcnt(0)
	flat_store_dwordx2 v[6:7], v[4:5]
	s_branch .LBB10_4
.LBB10_54:
	s_mov_b64 s[0:1], 0
.LBB10_55:
	s_andn2_b64 vcc, exec, s[0:1]
	s_cbranch_vccnz .LBB10_108
; %bb.56:
	s_andn2_b64 vcc, exec, s[24:25]
	s_cbranch_vccnz .LBB10_108
; %bb.57:
	s_ashr_i32 s7, s6, 31
	s_lshl_b64 s[0:1], s[12:13], 3
	s_lshl_b64 s[2:3], s[6:7], 3
	s_add_u32 s4, s0, s2
	s_addc_u32 s7, s1, s3
	s_add_u32 s28, s20, s4
	s_addc_u32 s29, s21, s7
	s_lshl_b64 s[30:31], s[12:13], 12
	s_lshl_b64 s[34:35], s[12:13], 4
	s_add_u32 s36, s30, 0x1000
	s_addc_u32 s37, s31, 0
	s_add_u32 s0, s0, -8
	s_addc_u32 s4, s1, -1
	s_add_u32 s38, s20, s2
	s_addc_u32 s39, s21, s3
	v_mov_b64_e32 v[2:3], s[38:39]
	v_mad_u64_u32 v[2:3], s[0:1], s0, v0, v[2:3]
	v_mov_b32_e32 v4, v3
	v_mad_u64_u32 v[4:5], s[0:1], s4, v0, v[4:5]
	v_or_b32_e32 v12, 0x200, v0
	v_mov_b32_e32 v3, v4
	v_mad_u64_u32 v[4:5], s[0:1], s12, v12, 0
	v_mov_b32_e32 v6, v5
	v_mad_u64_u32 v[6:7], s[0:1], s13, v12, v[6:7]
	s_add_u32 s0, s38, s22
	s_addc_u32 s1, s39, s23
	v_mov_b32_e32 v1, 0x1000
	v_mov_b32_e32 v5, v6
	s_add_u32 s40, s30, 0xfffff000
	v_lshl_or_b32 v1, v0, 3, v1
	v_lshl_add_u64 v[4:5], v[4:5], 3, s[0:1]
	s_addc_u32 s41, s31, -1
	s_mov_b32 s4, 0
	s_xor_b64 s[42:43], s[18:19], -1
	s_branch .LBB10_59
.LBB10_58:                              ;   in Loop: Header=BB10_59 Depth=1
	s_or_b64 exec, exec, s[44:45]
	s_add_u32 s28, s28, s30
	s_addc_u32 s29, s29, s31
	s_add_u32 s38, s38, s30
	v_lshl_add_u64 v[2:3], v[2:3], 0, s[30:31]
	s_addc_u32 s39, s39, s31
	v_lshl_add_u64 v[4:5], v[4:5], 0, s[36:37]
	v_add_u32_e32 v12, 0x200, v12
	s_and_b64 vcc, exec, s[2:3]
	s_mov_b32 s4, s7
	s_waitcnt lgkmcnt(0)
	s_barrier
	s_cbranch_vccnz .LBB10_108
.LBB10_59:                              ; =>This Loop Header: Depth=1
                                        ;     Child Loop BB10_63 Depth 2
                                        ;     Child Loop BB10_78 Depth 2
                                        ;       Child Loop BB10_81 Depth 3
	v_add_u32_e32 v13, s4, v0
	v_cmp_le_i32_e32 vcc, s5, v13
	v_cmp_gt_i32_e64 s[0:1], s5, v13
	s_and_saveexec_b64 s[2:3], s[0:1]
	s_cbranch_execz .LBB10_61
; %bb.60:                               ;   in Loop: Header=BB10_59 Depth=1
	v_mad_u64_u32 v[6:7], s[44:45], s8, v13, 0
	v_mov_b32_e32 v8, v7
	v_mad_u64_u32 v[8:9], s[44:45], s9, v13, v[8:9]
	v_mov_b32_e32 v7, v8
	v_lshl_add_u64 v[6:7], v[6:7], 3, s[16:17]
	flat_load_dwordx2 v[6:7], v[6:7]
	s_waitcnt vmcnt(0) lgkmcnt(0)
	ds_write_b64 v1, v[6:7]
.LBB10_61:                              ;   in Loop: Header=BB10_59 Depth=1
	s_or_b64 exec, exec, s[2:3]
	v_subrev_u32_e32 v8, s6, v13
	s_mov_b32 s33, 0
	s_movk_i32 s7, 0x1000
	s_xor_b64 s[44:45], vcc, -1
	s_mov_b64 s[48:49], s[38:39]
	v_mov_b64_e32 v[6:7], v[2:3]
	s_mov_b64 s[46:47], s[28:29]
	s_waitcnt lgkmcnt(0)
	s_barrier
	s_branch .LBB10_63
.LBB10_62:                              ;   in Loop: Header=BB10_63 Depth=2
                                        ; implicit-def: $sgpr33
                                        ; implicit-def: $sgpr7
                                        ; implicit-def: $sgpr46_sgpr47
                                        ; implicit-def: $vgpr6_vgpr7
                                        ; implicit-def: $sgpr48_sgpr49
	s_cbranch_execnz .LBB10_74
.LBB10_63:                              ;   Parent Loop BB10_59 Depth=1
                                        ; =>  This Inner Loop Header: Depth=2
	s_add_i32 s50, s4, s33
	s_cmp_ge_i32 s50, s5
	s_cbranch_scc1 .LBB10_62
; %bb.64:                               ;   in Loop: Header=BB10_63 Depth=2
	v_cmp_eq_u32_e32 vcc, s33, v0
	s_and_b64 s[52:53], s[42:43], vcc
	s_and_saveexec_b64 s[2:3], s[52:53]
	s_cbranch_execz .LBB10_66
; %bb.65:                               ;   in Loop: Header=BB10_63 Depth=2
	s_add_u32 s52, s48, s22
	s_addc_u32 s53, s49, s23
	v_mov_b64_e32 v[10:11], s[52:53]
	flat_load_dwordx2 v[10:11], v[10:11]
	ds_read_b64 v[14:15], v1
	s_waitcnt vmcnt(0) lgkmcnt(0)
	v_div_scale_f64 v[16:17], s[52:53], v[10:11], v[10:11], v[14:15]
	v_rcp_f64_e32 v[18:19], v[16:17]
	v_div_scale_f64 v[20:21], vcc, v[14:15], v[10:11], v[14:15]
	v_fma_f64 v[22:23], -v[16:17], v[18:19], 1.0
	v_fmac_f64_e32 v[18:19], v[18:19], v[22:23]
	v_fma_f64 v[22:23], -v[16:17], v[18:19], 1.0
	v_fmac_f64_e32 v[18:19], v[18:19], v[22:23]
	v_mul_f64 v[22:23], v[20:21], v[18:19]
	v_fma_f64 v[16:17], -v[16:17], v[22:23], v[20:21]
	v_div_fmas_f64 v[16:17], v[16:17], v[18:19], v[22:23]
	v_div_fixup_f64 v[10:11], v[16:17], v[10:11], v[14:15]
	ds_write_b64 v1, v[10:11]
.LBB10_66:                              ;   in Loop: Header=BB10_63 Depth=2
	s_or_b64 exec, exec, s[2:3]
	v_cmp_lt_u32_e32 vcc, s33, v0
	v_cmp_ge_i32_e64 s[2:3], s50, v8
	s_and_b64 s[52:53], s[44:45], vcc
	s_and_b64 s[52:53], s[52:53], s[2:3]
	s_waitcnt lgkmcnt(0)
	s_barrier
	s_and_saveexec_b64 s[2:3], s[52:53]
	s_cbranch_execz .LBB10_68
; %bb.67:                               ;   in Loop: Header=BB10_63 Depth=2
	v_lshl_add_u64 v[10:11], v[6:7], 0, s[22:23]
	flat_load_dwordx2 v[10:11], v[10:11]
	v_mov_b32_e32 v9, s7
	ds_read_b64 v[14:15], v9
	ds_read_b64 v[16:17], v1
	s_waitcnt vmcnt(0) lgkmcnt(0)
	v_fma_f64 v[10:11], -v[10:11], v[14:15], v[16:17]
	ds_write_b64 v1, v[10:11]
.LBB10_68:                              ;   in Loop: Header=BB10_63 Depth=2
	s_or_b64 exec, exec, s[2:3]
	s_add_i32 s50, s50, 1
	s_cmp_ge_i32 s50, s5
	s_cbranch_scc1 .LBB10_62
; %bb.69:                               ;   in Loop: Header=BB10_63 Depth=2
	s_add_i32 s33, s33, 1
	v_cmp_eq_u32_e32 vcc, s33, v0
	s_and_b64 s[52:53], s[42:43], vcc
	s_and_saveexec_b64 s[2:3], s[52:53]
	s_cbranch_execz .LBB10_71
; %bb.70:                               ;   in Loop: Header=BB10_63 Depth=2
	s_add_u32 s52, s46, s22
	s_addc_u32 s53, s47, s23
	v_mov_b64_e32 v[10:11], s[52:53]
	flat_load_dwordx2 v[10:11], v[10:11]
	ds_read_b64 v[14:15], v1
	s_waitcnt vmcnt(0) lgkmcnt(0)
	v_div_scale_f64 v[16:17], s[52:53], v[10:11], v[10:11], v[14:15]
	v_rcp_f64_e32 v[18:19], v[16:17]
	v_div_scale_f64 v[20:21], vcc, v[14:15], v[10:11], v[14:15]
	v_fma_f64 v[22:23], -v[16:17], v[18:19], 1.0
	v_fmac_f64_e32 v[18:19], v[18:19], v[22:23]
	v_fma_f64 v[22:23], -v[16:17], v[18:19], 1.0
	v_fmac_f64_e32 v[18:19], v[18:19], v[22:23]
	v_mul_f64 v[22:23], v[20:21], v[18:19]
	v_fma_f64 v[16:17], -v[16:17], v[22:23], v[20:21]
	v_div_fmas_f64 v[16:17], v[16:17], v[18:19], v[22:23]
	v_div_fixup_f64 v[10:11], v[16:17], v[10:11], v[14:15]
	ds_write_b64 v1, v[10:11]
.LBB10_71:                              ;   in Loop: Header=BB10_63 Depth=2
	s_or_b64 exec, exec, s[2:3]
	v_cmp_lt_u32_e32 vcc, s33, v0
	v_cmp_ge_i32_e64 s[2:3], s50, v8
	s_and_b64 s[50:51], s[44:45], vcc
	s_and_b64 s[50:51], s[50:51], s[2:3]
	s_waitcnt lgkmcnt(0)
	s_barrier
	s_and_saveexec_b64 s[2:3], s[50:51]
	s_cbranch_execz .LBB10_73
; %bb.72:                               ;   in Loop: Header=BB10_63 Depth=2
	v_lshl_add_u64 v[10:11], v[6:7], 0, s[22:23]
	flat_load_dwordx2 v[10:11], v[10:11] offset:8
	v_mov_b32_e32 v9, s7
	ds_read_b64 v[14:15], v9 offset:8
	ds_read_b64 v[16:17], v1
	s_waitcnt vmcnt(0) lgkmcnt(0)
	v_fma_f64 v[10:11], -v[10:11], v[14:15], v[16:17]
	ds_write_b64 v1, v[10:11]
.LBB10_73:                              ;   in Loop: Header=BB10_63 Depth=2
	s_or_b64 exec, exec, s[2:3]
	s_add_i32 s7, s7, 16
	s_add_u32 s46, s46, s34
	s_addc_u32 s47, s47, s35
	s_add_u32 s48, s48, s34
	s_addc_u32 s49, s49, s35
	s_add_i32 s33, s33, 1
	s_cmpk_eq_i32 s33, 0x200
	v_lshl_add_u64 v[6:7], v[6:7], 0, 16
	s_cselect_b64 s[2:3], -1, 0
	s_and_b64 vcc, exec, s[2:3]
	s_cbranch_vccz .LBB10_63
.LBB10_74:                              ;   in Loop: Header=BB10_59 Depth=1
	s_add_i32 s7, s4, 0x200
	s_cmp_ge_i32 s7, s5
	s_cselect_b64 s[2:3], -1, 0
	s_and_b64 vcc, exec, s[2:3]
	s_waitcnt lgkmcnt(0)
	s_barrier
	s_cbranch_vccnz .LBB10_106
; %bb.75:                               ;   in Loop: Header=BB10_59 Depth=1
	v_mad_i64_i32 v[6:7], s[44:45], v12, -8, v[4:5]
	s_mov_b64 s[44:45], 0
	v_mov_b32_e32 v14, v0
	s_mov_b32 s33, s7
                                        ; implicit-def: $sgpr46_sgpr47
	s_branch .LBB10_78
.LBB10_76:                              ;   in Loop: Header=BB10_78 Depth=2
	v_mad_u64_u32 v[10:11], s[50:51], s8, v15, 0
	v_mov_b32_e32 v16, v11
	v_mad_u64_u32 v[16:17], s[50:51], s9, v15, v[16:17]
	v_mov_b32_e32 v11, v16
	v_lshl_add_u64 v[10:11], v[10:11], 3, s[16:17]
	flat_load_dwordx2 v[16:17], v[10:11]
	s_addk_i32 s33, 0x200
	s_cmp_ge_i32 s33, s5
	s_cselect_b64 s[50:51], -1, 0
	s_andn2_b64 s[46:47], s[46:47], exec
	s_and_b64 s[50:51], s[50:51], exec
	v_lshl_add_u64 v[6:7], v[6:7], 0, s[40:41]
	s_or_b64 s[46:47], s[46:47], s[50:51]
	s_waitcnt vmcnt(0) lgkmcnt(0)
	v_add_f64 v[8:9], v[16:17], -v[8:9]
	flat_store_dwordx2 v[10:11], v[8:9]
.LBB10_77:                              ;   in Loop: Header=BB10_78 Depth=2
	s_or_b64 exec, exec, s[48:49]
	s_and_b64 s[48:49], exec, s[46:47]
	s_or_b64 s[44:45], s[48:49], s[44:45]
	s_andn2_b64 exec, exec, s[44:45]
	s_cbranch_execz .LBB10_105
.LBB10_78:                              ;   Parent Loop BB10_59 Depth=1
                                        ; =>  This Loop Header: Depth=2
                                        ;       Child Loop BB10_81 Depth 3
	v_add_u32_e32 v15, s33, v0
	v_cmp_gt_i32_e32 vcc, s5, v15
	s_or_b64 s[46:47], s[46:47], exec
	s_and_saveexec_b64 s[48:49], vcc
	s_cbranch_execz .LBB10_77
; %bb.79:                               ;   in Loop: Header=BB10_78 Depth=2
	v_subrev_u32_e32 v16, s6, v15
	v_add_u32_e32 v17, 0x1fd, v14
	v_add_u32_e32 v18, 0x1fe, v14
	;; [unrolled: 1-line block ×4, first 2 shown]
	v_mov_b64_e32 v[8:9], 0
	s_mov_b32 s54, 0
	s_movk_i32 s55, 0x1000
	v_mov_b64_e32 v[10:11], v[6:7]
	s_branch .LBB10_81
.LBB10_80:                              ;   in Loop: Header=BB10_81 Depth=3
	s_or_b64 exec, exec, s[50:51]
	s_add_i32 s54, s54, 4
	s_add_i32 s55, s55, 32
	s_cmpk_eq_i32 s54, 0x200
	v_lshl_add_u64 v[10:11], v[10:11], 0, 32
	s_cbranch_scc1 .LBB10_76
.LBB10_81:                              ;   Parent Loop BB10_59 Depth=1
                                        ;     Parent Loop BB10_78 Depth=2
                                        ; =>    This Inner Loop Header: Depth=3
	v_cmp_ne_u32_e32 vcc, s54, v14
	s_add_i32 s56, s4, s54
	s_or_b64 s[50:51], s[42:43], vcc
	s_and_saveexec_b64 s[52:53], s[50:51]
	s_xor_b64 s[50:51], exec, s[52:53]
	s_cbranch_execz .LBB10_85
; %bb.82:                               ;   in Loop: Header=BB10_81 Depth=3
	s_cmp_lt_i32 s56, s5
	s_cselect_b64 s[52:53], -1, 0
	v_cmp_ge_i32_e32 vcc, s56, v16
	s_and_b64 s[58:59], s[52:53], vcc
	s_and_saveexec_b64 s[52:53], s[58:59]
	s_cbranch_execz .LBB10_84
; %bb.83:                               ;   in Loop: Header=BB10_81 Depth=3
	flat_load_dwordx2 v[20:21], v[10:11]
	v_mov_b32_e32 v22, s55
	ds_read_b64 v[22:23], v22
	s_waitcnt vmcnt(0) lgkmcnt(0)
	v_fmac_f64_e32 v[8:9], v[20:21], v[22:23]
.LBB10_84:                              ;   in Loop: Header=BB10_81 Depth=3
	s_or_b64 exec, exec, s[52:53]
.LBB10_85:                              ;   in Loop: Header=BB10_81 Depth=3
	s_andn2_saveexec_b64 s[50:51], s[50:51]
	s_cbranch_execz .LBB10_87
; %bb.86:                               ;   in Loop: Header=BB10_81 Depth=3
	v_mov_b32_e32 v20, s55
	ds_read_b64 v[20:21], v20
	s_waitcnt lgkmcnt(0)
	v_add_f64 v[8:9], v[8:9], v[20:21]
.LBB10_87:                              ;   in Loop: Header=BB10_81 Depth=3
	s_or_b64 exec, exec, s[50:51]
	v_cmp_ne_u32_e32 vcc, s54, v19
	s_or_b64 s[50:51], s[42:43], vcc
	s_and_saveexec_b64 s[52:53], s[50:51]
	s_xor_b64 s[50:51], exec, s[52:53]
	s_cbranch_execz .LBB10_91
; %bb.88:                               ;   in Loop: Header=BB10_81 Depth=3
	s_add_i32 s57, s56, 1
	s_cmp_lt_i32 s57, s5
	s_cselect_b64 s[52:53], -1, 0
	v_cmp_ge_i32_e32 vcc, s57, v16
	s_and_b64 s[58:59], s[52:53], vcc
	s_and_saveexec_b64 s[52:53], s[58:59]
	s_cbranch_execz .LBB10_90
; %bb.89:                               ;   in Loop: Header=BB10_81 Depth=3
	flat_load_dwordx2 v[20:21], v[10:11] offset:8
	v_mov_b32_e32 v22, s55
	ds_read_b64 v[22:23], v22 offset:8
	s_waitcnt vmcnt(0) lgkmcnt(0)
	v_fmac_f64_e32 v[8:9], v[20:21], v[22:23]
.LBB10_90:                              ;   in Loop: Header=BB10_81 Depth=3
	s_or_b64 exec, exec, s[52:53]
.LBB10_91:                              ;   in Loop: Header=BB10_81 Depth=3
	s_andn2_saveexec_b64 s[50:51], s[50:51]
	s_cbranch_execz .LBB10_93
; %bb.92:                               ;   in Loop: Header=BB10_81 Depth=3
	v_mov_b32_e32 v20, s55
	ds_read_b64 v[20:21], v20 offset:8
	s_waitcnt lgkmcnt(0)
	v_add_f64 v[8:9], v[8:9], v[20:21]
.LBB10_93:                              ;   in Loop: Header=BB10_81 Depth=3
	s_or_b64 exec, exec, s[50:51]
	v_cmp_ne_u32_e32 vcc, s54, v18
	s_or_b64 s[50:51], s[42:43], vcc
	s_and_saveexec_b64 s[52:53], s[50:51]
	s_xor_b64 s[50:51], exec, s[52:53]
	s_cbranch_execz .LBB10_97
; %bb.94:                               ;   in Loop: Header=BB10_81 Depth=3
	s_add_i32 s57, s56, 2
	s_cmp_lt_i32 s57, s5
	s_cselect_b64 s[52:53], -1, 0
	v_cmp_ge_i32_e32 vcc, s57, v16
	s_and_b64 s[58:59], s[52:53], vcc
	s_and_saveexec_b64 s[52:53], s[58:59]
	s_cbranch_execz .LBB10_96
; %bb.95:                               ;   in Loop: Header=BB10_81 Depth=3
	flat_load_dwordx2 v[20:21], v[10:11] offset:16
	v_mov_b32_e32 v22, s55
	ds_read_b64 v[22:23], v22 offset:16
	s_waitcnt vmcnt(0) lgkmcnt(0)
	v_fmac_f64_e32 v[8:9], v[20:21], v[22:23]
.LBB10_96:                              ;   in Loop: Header=BB10_81 Depth=3
	s_or_b64 exec, exec, s[52:53]
.LBB10_97:                              ;   in Loop: Header=BB10_81 Depth=3
	s_andn2_saveexec_b64 s[50:51], s[50:51]
	s_cbranch_execz .LBB10_99
; %bb.98:                               ;   in Loop: Header=BB10_81 Depth=3
	v_mov_b32_e32 v20, s55
	ds_read_b64 v[20:21], v20 offset:16
	s_waitcnt lgkmcnt(0)
	v_add_f64 v[8:9], v[8:9], v[20:21]
.LBB10_99:                              ;   in Loop: Header=BB10_81 Depth=3
	s_or_b64 exec, exec, s[50:51]
	v_cmp_ne_u32_e32 vcc, s54, v17
	s_or_b64 s[50:51], s[42:43], vcc
	s_and_saveexec_b64 s[52:53], s[50:51]
	s_xor_b64 s[50:51], exec, s[52:53]
	s_cbranch_execz .LBB10_103
; %bb.100:                              ;   in Loop: Header=BB10_81 Depth=3
	s_add_i32 s56, s56, 3
	s_cmp_lt_i32 s56, s5
	s_cselect_b64 s[52:53], -1, 0
	v_cmp_ge_i32_e32 vcc, s56, v16
	s_and_b64 s[56:57], s[52:53], vcc
	s_and_saveexec_b64 s[52:53], s[56:57]
	s_cbranch_execz .LBB10_102
; %bb.101:                              ;   in Loop: Header=BB10_81 Depth=3
	flat_load_dwordx2 v[20:21], v[10:11] offset:24
	v_mov_b32_e32 v22, s55
	ds_read_b64 v[22:23], v22 offset:24
	s_waitcnt vmcnt(0) lgkmcnt(0)
	v_fmac_f64_e32 v[8:9], v[20:21], v[22:23]
.LBB10_102:                             ;   in Loop: Header=BB10_81 Depth=3
	s_or_b64 exec, exec, s[52:53]
.LBB10_103:                             ;   in Loop: Header=BB10_81 Depth=3
	s_andn2_saveexec_b64 s[50:51], s[50:51]
	s_cbranch_execz .LBB10_80
; %bb.104:                              ;   in Loop: Header=BB10_81 Depth=3
	v_mov_b32_e32 v20, s55
	ds_read_b64 v[20:21], v20 offset:24
	s_waitcnt lgkmcnt(0)
	v_add_f64 v[8:9], v[8:9], v[20:21]
	s_branch .LBB10_80
.LBB10_105:                             ;   in Loop: Header=BB10_59 Depth=1
	s_or_b64 exec, exec, s[44:45]
.LBB10_106:                             ;   in Loop: Header=BB10_59 Depth=1
	s_and_saveexec_b64 s[44:45], s[0:1]
	s_cbranch_execz .LBB10_58
; %bb.107:                              ;   in Loop: Header=BB10_59 Depth=1
	ds_read_b64 v[6:7], v1
	v_mad_u64_u32 v[8:9], s[0:1], s8, v13, 0
	v_mov_b32_e32 v10, v9
	v_mad_u64_u32 v[10:11], s[0:1], s9, v13, v[10:11]
	v_mov_b32_e32 v9, v10
	v_lshl_add_u64 v[8:9], v[8:9], 3, s[16:17]
	s_waitcnt lgkmcnt(0)
	flat_store_dwordx2 v[8:9], v[6:7]
	s_branch .LBB10_58
.LBB10_108:
	s_mov_b64 s[0:1], 0
.LBB10_109:
	s_andn2_b64 vcc, exec, s[0:1]
	s_cbranch_vccnz .LBB10_183
; %bb.110:
	s_mov_b64 s[0:1], -1
	s_and_b64 vcc, exec, s[26:27]
	s_cbranch_vccz .LBB10_147
; %bb.111:
	s_andn2_b64 vcc, exec, s[24:25]
	s_cbranch_vccnz .LBB10_146
; %bb.112:
	s_lshl_b64 s[26:27], s[12:13], 12
	s_lshl_b64 s[28:29], s[12:13], 3
	s_add_u32 s30, s20, s28
	s_addc_u32 s31, s21, s29
	s_lshl_b64 s[0:1], s[12:13], 4
	s_add_u32 s4, s0, -16
	v_lshlrev_b32_e32 v1, 3, v0
	v_or_b32_e32 v2, 0x200, v0
	s_addc_u32 s7, s1, -1
	s_mov_b32 s33, 0
	s_mov_b64 s[34:35], -1
	s_mov_b64 s[36:37], 0
	s_xor_b64 s[38:39], s[18:19], -1
	v_mov_b32_e32 v5, 0
	s_mov_b64 s[40:41], 0
	s_mov_b64 s[42:43], s[14:15]
	s_branch .LBB10_114
.LBB10_113:                             ;   in Loop: Header=BB10_114 Depth=1
	s_or_b64 exec, exec, s[44:45]
	s_add_u32 s42, s42, s26
	s_addc_u32 s43, s43, s27
	s_add_u32 s34, s34, 0xfffffe00
	s_addc_u32 s35, s35, -1
	s_add_u32 s40, s40, s26
	s_addc_u32 s41, s41, s27
	s_add_u32 s36, s36, 0xfffffe00
	v_add_u32_e32 v2, 0x200, v2
	s_addc_u32 s37, s37, -1
	s_and_b64 vcc, exec, s[2:3]
	s_mov_b32 s33, s60
	s_waitcnt lgkmcnt(0)
	s_barrier
	s_cbranch_vccnz .LBB10_146
.LBB10_114:                             ; =>This Loop Header: Depth=1
                                        ;     Child Loop BB10_118 Depth 2
                                        ;     Child Loop BB10_128 Depth 2
                                        ;       Child Loop BB10_131 Depth 3
	v_add_u32_e32 v12, s33, v0
	v_cmp_le_i32_e32 vcc, s5, v12
	v_cmp_gt_i32_e64 s[0:1], s5, v12
	s_and_saveexec_b64 s[2:3], s[0:1]
	s_cbranch_execz .LBB10_116
; %bb.115:                              ;   in Loop: Header=BB10_114 Depth=1
	v_mad_u64_u32 v[6:7], s[44:45], s8, v12, 0
	v_mov_b32_e32 v4, v7
	v_mad_u64_u32 v[8:9], s[44:45], s9, v12, v[4:5]
	v_mov_b32_e32 v7, v8
	v_lshl_add_u64 v[6:7], v[6:7], 3, s[16:17]
	flat_load_dwordx2 v[6:7], v[6:7]
	s_waitcnt vmcnt(0) lgkmcnt(0)
	ds_write_b64 v1, v[6:7]
.LBB10_116:                             ;   in Loop: Header=BB10_114 Depth=1
	s_or_b64 exec, exec, s[2:3]
	v_subrev_u32_e32 v3, s6, v12
	s_mov_b32 s48, 0
	s_xor_b64 s[44:45], vcc, -1
	s_mov_b64 s[46:47], s[42:43]
	v_mov_b32_e32 v4, v0
	s_mov_b32 s49, 0
	s_waitcnt lgkmcnt(0)
	s_barrier
	s_branch .LBB10_118
.LBB10_117:                             ;   in Loop: Header=BB10_118 Depth=2
	s_or_b64 exec, exec, s[2:3]
	s_add_i32 s49, s49, 1
	s_add_i32 s48, s48, 8
	s_add_u32 s46, s46, s28
	s_addc_u32 s47, s47, s29
	s_cmpk_eq_i32 s49, 0x200
	v_add_u32_e32 v4, -1, v4
	s_cselect_b64 s[2:3], -1, 0
	s_and_b64 vcc, exec, s[2:3]
	s_cbranch_vccnz .LBB10_124
.LBB10_118:                             ;   Parent Loop BB10_114 Depth=1
                                        ; =>  This Inner Loop Header: Depth=2
	s_add_i32 s50, s33, s49
	s_cmp_ge_i32 s50, s5
	s_cbranch_scc1 .LBB10_123
; %bb.119:                              ;   in Loop: Header=BB10_118 Depth=2
	v_cmp_eq_u32_e32 vcc, s49, v0
	s_and_b64 s[52:53], s[38:39], vcc
	s_and_saveexec_b64 s[2:3], s[52:53]
	s_cbranch_execz .LBB10_121
; %bb.120:                              ;   in Loop: Header=BB10_118 Depth=2
	v_mov_b64_e32 v[6:7], s[46:47]
	flat_load_dwordx2 v[6:7], v[6:7]
	ds_read_b64 v[8:9], v1
	s_waitcnt vmcnt(0) lgkmcnt(0)
	v_div_scale_f64 v[10:11], s[52:53], v[6:7], v[6:7], v[8:9]
	v_rcp_f64_e32 v[14:15], v[10:11]
	v_div_scale_f64 v[16:17], vcc, v[8:9], v[6:7], v[8:9]
	v_fma_f64 v[18:19], -v[10:11], v[14:15], 1.0
	v_fmac_f64_e32 v[14:15], v[14:15], v[18:19]
	v_fma_f64 v[18:19], -v[10:11], v[14:15], 1.0
	v_fmac_f64_e32 v[14:15], v[14:15], v[18:19]
	v_mul_f64 v[18:19], v[16:17], v[14:15]
	v_fma_f64 v[10:11], -v[10:11], v[18:19], v[16:17]
	v_div_fmas_f64 v[10:11], v[10:11], v[14:15], v[18:19]
	v_div_fixup_f64 v[6:7], v[10:11], v[6:7], v[8:9]
	ds_write_b64 v1, v[6:7]
.LBB10_121:                             ;   in Loop: Header=BB10_118 Depth=2
	s_or_b64 exec, exec, s[2:3]
	v_cmp_lt_u32_e32 vcc, s49, v0
	v_cmp_ge_i32_e64 s[2:3], s50, v3
	s_and_b64 s[50:51], s[44:45], vcc
	s_and_b64 s[50:51], s[50:51], s[2:3]
	s_waitcnt lgkmcnt(0)
	s_barrier
	s_and_saveexec_b64 s[2:3], s[50:51]
	s_cbranch_execz .LBB10_117
; %bb.122:                              ;   in Loop: Header=BB10_118 Depth=2
	v_lshl_add_u64 v[6:7], v[4:5], 3, s[46:47]
	flat_load_dwordx2 v[6:7], v[6:7]
	v_mov_b32_e32 v8, s48
	ds_read_b64 v[8:9], v8
	ds_read_b64 v[10:11], v1
	s_waitcnt vmcnt(0) lgkmcnt(0)
	v_fma_f64 v[6:7], -v[6:7], v[8:9], v[10:11]
	ds_write_b64 v1, v[6:7]
	s_branch .LBB10_117
.LBB10_123:                             ;   in Loop: Header=BB10_118 Depth=2
                                        ; implicit-def: $sgpr49
                                        ; implicit-def: $sgpr48
                                        ; implicit-def: $sgpr46_sgpr47
	s_cbranch_execz .LBB10_118
.LBB10_124:                             ;   in Loop: Header=BB10_114 Depth=1
	s_add_i32 s60, s33, 0x200
	s_cmp_ge_i32 s60, s5
	s_cselect_b64 s[2:3], -1, 0
	s_and_b64 vcc, exec, s[2:3]
	s_waitcnt lgkmcnt(0)
	s_barrier
	s_cbranch_vccnz .LBB10_144
; %bb.125:                              ;   in Loop: Header=BB10_114 Depth=1
	v_ashrrev_i32_e32 v3, 31, v2
	v_lshl_add_u64 v[6:7], s[34:35], 0, v[2:3]
	v_lshl_add_u64 v[8:9], s[36:37], 0, v[2:3]
	v_lshlrev_b64 v[6:7], 3, v[6:7]
	v_lshlrev_b64 v[8:9], 3, v[8:9]
	s_mov_b64 s[44:45], 0
	s_mov_b64 s[46:47], s[40:41]
	v_mov_b32_e32 v3, v0
	s_mov_b32 s61, s60
                                        ; implicit-def: $sgpr48_sgpr49
	s_branch .LBB10_128
.LBB10_126:                             ;   in Loop: Header=BB10_128 Depth=2
	v_mad_u64_u32 v[14:15], s[52:53], s8, v4, 0
	v_mov_b32_e32 v16, v15
	v_mad_u64_u32 v[16:17], s[52:53], s9, v4, v[16:17]
	v_mov_b32_e32 v15, v16
	v_lshl_add_u64 v[14:15], v[14:15], 3, s[16:17]
	flat_load_dwordx2 v[16:17], v[14:15]
	s_addk_i32 s61, 0x200
	s_add_u32 s46, s46, 0x1000
	s_addc_u32 s47, s47, 0
	s_cmp_ge_i32 s61, s5
	s_cselect_b64 s[52:53], -1, 0
	s_andn2_b64 s[48:49], s[48:49], exec
	s_and_b64 s[52:53], s[52:53], exec
	s_or_b64 s[48:49], s[48:49], s[52:53]
	s_waitcnt vmcnt(0) lgkmcnt(0)
	v_add_f64 v[10:11], v[16:17], -v[10:11]
	flat_store_dwordx2 v[14:15], v[10:11]
.LBB10_127:                             ;   in Loop: Header=BB10_128 Depth=2
	s_or_b64 exec, exec, s[50:51]
	s_and_b64 s[50:51], exec, s[48:49]
	s_or_b64 s[44:45], s[50:51], s[44:45]
	s_andn2_b64 exec, exec, s[44:45]
	s_cbranch_execz .LBB10_143
.LBB10_128:                             ;   Parent Loop BB10_114 Depth=1
                                        ; =>  This Loop Header: Depth=2
                                        ;       Child Loop BB10_131 Depth 3
	v_add_u32_e32 v4, s61, v0
	v_cmp_gt_i32_e32 vcc, s5, v4
	s_or_b64 s[48:49], s[48:49], exec
	s_and_saveexec_b64 s[50:51], vcc
	s_cbranch_execz .LBB10_127
; %bb.129:                              ;   in Loop: Header=BB10_128 Depth=2
	v_subrev_u32_e32 v13, s6, v4
	v_add_u32_e32 v14, 0x1ff, v3
	v_add_u32_e32 v3, 0x200, v3
	v_mov_b64_e32 v[10:11], 0
	s_mov_b32 s62, 0
	s_mov_b64 s[52:53], s[20:21]
	s_mov_b64 s[54:55], s[30:31]
	s_mov_b32 s63, 0
	s_branch .LBB10_131
.LBB10_130:                             ;   in Loop: Header=BB10_131 Depth=3
	s_or_b64 exec, exec, s[56:57]
	s_add_i32 s63, s63, 2
	s_add_u32 s54, s54, s4
	s_addc_u32 s55, s55, s7
	s_add_i32 s62, s62, 16
	s_add_u32 s52, s52, s4
	s_addc_u32 s53, s53, s7
	s_cmpk_eq_i32 s63, 0x200
	s_cbranch_scc1 .LBB10_126
.LBB10_131:                             ;   Parent Loop BB10_114 Depth=1
                                        ;     Parent Loop BB10_128 Depth=2
                                        ; =>    This Inner Loop Header: Depth=3
	v_cmp_ne_u32_e32 vcc, s63, v3
	s_add_i32 s64, s33, s63
	s_or_b64 s[56:57], s[38:39], vcc
	s_and_saveexec_b64 s[58:59], s[56:57]
	s_xor_b64 s[56:57], exec, s[58:59]
	s_cbranch_execz .LBB10_135
; %bb.132:                              ;   in Loop: Header=BB10_131 Depth=3
	s_cmp_lt_i32 s64, s5
	s_cselect_b64 s[58:59], -1, 0
	v_cmp_ge_i32_e32 vcc, s64, v13
	s_and_b64 s[66:67], s[58:59], vcc
	s_and_saveexec_b64 s[58:59], s[66:67]
	s_cbranch_execz .LBB10_134
; %bb.133:                              ;   in Loop: Header=BB10_131 Depth=3
	s_add_u32 s66, s52, s22
	s_addc_u32 s67, s53, s23
	v_lshl_add_u64 v[16:17], s[66:67], 0, v[8:9]
	v_lshl_add_u64 v[16:17], v[16:17], 0, s[46:47]
	flat_load_dwordx2 v[16:17], v[16:17]
	v_mov_b32_e32 v15, s62
	ds_read_b64 v[18:19], v15
	s_waitcnt vmcnt(0) lgkmcnt(0)
	v_fmac_f64_e32 v[10:11], v[16:17], v[18:19]
.LBB10_134:                             ;   in Loop: Header=BB10_131 Depth=3
	s_or_b64 exec, exec, s[58:59]
.LBB10_135:                             ;   in Loop: Header=BB10_131 Depth=3
	s_andn2_saveexec_b64 s[56:57], s[56:57]
	s_cbranch_execz .LBB10_137
; %bb.136:                              ;   in Loop: Header=BB10_131 Depth=3
	v_mov_b32_e32 v15, s62
	ds_read_b64 v[16:17], v15
	s_waitcnt lgkmcnt(0)
	v_add_f64 v[10:11], v[10:11], v[16:17]
.LBB10_137:                             ;   in Loop: Header=BB10_131 Depth=3
	s_or_b64 exec, exec, s[56:57]
	v_cmp_ne_u32_e32 vcc, s63, v14
	s_or_b64 s[56:57], s[38:39], vcc
	s_and_saveexec_b64 s[58:59], s[56:57]
	s_xor_b64 s[56:57], exec, s[58:59]
	s_cbranch_execz .LBB10_141
; %bb.138:                              ;   in Loop: Header=BB10_131 Depth=3
	s_add_i32 s64, s64, 1
	s_cmp_lt_i32 s64, s5
	s_cselect_b64 s[58:59], -1, 0
	v_cmp_ge_i32_e32 vcc, s64, v13
	s_and_b64 s[64:65], s[58:59], vcc
	s_and_saveexec_b64 s[58:59], s[64:65]
	s_cbranch_execz .LBB10_140
; %bb.139:                              ;   in Loop: Header=BB10_131 Depth=3
	s_add_u32 s64, s54, s22
	s_addc_u32 s65, s55, s23
	v_lshl_add_u64 v[16:17], s[64:65], 0, v[6:7]
	v_lshl_add_u64 v[16:17], v[16:17], 0, s[46:47]
	flat_load_dwordx2 v[16:17], v[16:17]
	v_mov_b32_e32 v15, s62
	ds_read_b64 v[18:19], v15 offset:8
	s_waitcnt vmcnt(0) lgkmcnt(0)
	v_fmac_f64_e32 v[10:11], v[16:17], v[18:19]
.LBB10_140:                             ;   in Loop: Header=BB10_131 Depth=3
	s_or_b64 exec, exec, s[58:59]
.LBB10_141:                             ;   in Loop: Header=BB10_131 Depth=3
	s_andn2_saveexec_b64 s[56:57], s[56:57]
	s_cbranch_execz .LBB10_130
; %bb.142:                              ;   in Loop: Header=BB10_131 Depth=3
	v_mov_b32_e32 v15, s62
	ds_read_b64 v[16:17], v15 offset:8
	s_waitcnt lgkmcnt(0)
	v_add_f64 v[10:11], v[10:11], v[16:17]
	s_branch .LBB10_130
.LBB10_143:                             ;   in Loop: Header=BB10_114 Depth=1
	s_or_b64 exec, exec, s[44:45]
.LBB10_144:                             ;   in Loop: Header=BB10_114 Depth=1
	s_and_saveexec_b64 s[44:45], s[0:1]
	s_cbranch_execz .LBB10_113
; %bb.145:                              ;   in Loop: Header=BB10_114 Depth=1
	ds_read_b64 v[6:7], v1
	v_mad_u64_u32 v[8:9], s[0:1], s8, v12, 0
	v_mov_b32_e32 v4, v9
	v_mad_u64_u32 v[10:11], s[0:1], s9, v12, v[4:5]
	v_mov_b32_e32 v9, v10
	v_lshl_add_u64 v[8:9], v[8:9], 3, s[16:17]
	s_waitcnt lgkmcnt(0)
	flat_store_dwordx2 v[8:9], v[6:7]
	s_branch .LBB10_113
.LBB10_146:
	s_mov_b64 s[0:1], 0
.LBB10_147:
	s_andn2_b64 vcc, exec, s[0:1]
	s_cbranch_vccnz .LBB10_183
; %bb.148:
	s_andn2_b64 vcc, exec, s[24:25]
	s_cbranch_vccnz .LBB10_183
; %bb.149:
	s_ashr_i32 s7, s6, 31
	s_add_i32 s28, s5, 0xfffffe00
	s_add_i32 s24, s5, -1
	s_lshl_b64 s[0:1], s[6:7], 3
	s_add_u32 s2, s22, s0
	s_addc_u32 s3, s23, s1
	s_ashr_i32 s25, s24, 31
	s_lshl_b64 s[0:1], s[24:25], 3
	s_sub_u32 s0, s2, s0
	s_subb_u32 s1, s3, s1
	s_add_u32 s22, s20, s0
	s_addc_u32 s23, s21, s1
	s_lshl_b64 s[26:27], s[12:13], 3
	s_add_u32 s4, s26, 8
	s_addc_u32 s25, s27, 0
	s_sub_i32 s0, s6, s5
	s_add_i32 s33, s0, 0x1ff
	s_add_u32 s0, s10, s6
	s_addc_u32 s1, s11, s7
	s_ashr_i32 s3, s5, 31
	s_mov_b32 s2, s5
	s_lshl_b64 s[0:1], s[0:1], 3
	s_lshl_b64 s[2:3], s[2:3], 3
	s_sub_u32 s0, s0, s2
	s_subb_u32 s1, s1, s3
	s_add_u32 s0, s20, s0
	s_addc_u32 s1, s21, s1
	s_add_u32 s7, s0, 0x1000
	s_addc_u32 s42, s1, 0
	s_lshl_b64 s[0:1], s[12:13], 4
	v_mov_b32_e32 v1, 0x2000
	v_add_u32_e32 v3, s5, v0
	s_add_u32 s10, s0, -16
	v_lshl_or_b32 v1, v0, 3, v1
	v_add_u32_e32 v2, 0xfffffe00, v3
	v_add_u32_e32 v14, 0xfffffc00, v3
	s_addc_u32 s11, s1, -1
	v_mov_b32_e32 v5, 0
	s_xor_b64 s[18:19], s[18:19], -1
	s_branch .LBB10_151
.LBB10_150:                             ;   in Loop: Header=BB10_151 Depth=1
	s_or_b64 exec, exec, s[20:21]
	s_addk_i32 s24, 0xfe00
	s_add_u32 s22, s22, 0x1000
	s_addc_u32 s23, s23, 0
	s_addk_i32 s5, 0xfe00
	s_addk_i32 s33, 0x200
	s_add_u32 s7, s7, 0x1000
	v_add_u32_e32 v2, 0xfffffe00, v2
	s_addc_u32 s42, s42, 0
	v_add_u32_e32 v14, 0xfffffe00, v14
	s_and_b64 vcc, exec, s[2:3]
	s_mov_b32 s28, s43
	s_waitcnt lgkmcnt(0)
	s_barrier
	s_cbranch_vccnz .LBB10_183
.LBB10_151:                             ; =>This Loop Header: Depth=1
                                        ;     Child Loop BB10_156 Depth 2
                                        ;     Child Loop BB10_165 Depth 2
                                        ;       Child Loop BB10_168 Depth 3
	v_add_u32_e32 v15, s28, v0
	v_cmp_gt_i32_e32 vcc, 0, v15
	v_cmp_lt_i32_e64 s[0:1], -1, v15
	s_and_saveexec_b64 s[2:3], s[0:1]
	s_cbranch_execz .LBB10_153
; %bb.152:                              ;   in Loop: Header=BB10_151 Depth=1
	v_mad_u64_u32 v[6:7], s[20:21], s8, v15, 0
	v_mov_b32_e32 v4, v7
	v_mad_u64_u32 v[8:9], s[20:21], s9, v15, v[4:5]
	v_mov_b32_e32 v7, v8
	v_lshl_add_u64 v[6:7], v[6:7], 3, s[16:17]
	flat_load_dwordx2 v[6:7], v[6:7]
	s_waitcnt vmcnt(0) lgkmcnt(0)
	ds_write_b64 v1, v[6:7]
.LBB10_153:                             ;   in Loop: Header=BB10_151 Depth=1
	s_or_b64 exec, exec, s[2:3]
	v_mov_b32_e32 v3, v5
	v_mov_b64_e32 v[6:7], s[22:23]
	v_lshl_add_u64 v[8:9], v[2:3], 3, s[22:23]
	v_add_u32_e32 v3, s6, v15
	s_movk_i32 s29, 0x1ff
	s_movk_i32 s30, 0x2ff8
	s_xor_b64 s[20:21], vcc, -1
	s_mov_b32 s31, s24
	s_waitcnt lgkmcnt(0)
	s_barrier
	s_branch .LBB10_156
.LBB10_154:                             ;   in Loop: Header=BB10_156 Depth=2
	s_or_b64 exec, exec, s[2:3]
	s_add_i32 s29, s29, -1
	s_add_i32 s30, s30, -8
	;; [unrolled: 1-line block ×3, first 2 shown]
	s_cmp_eq_u32 s29, -1
	v_lshl_add_u64 v[8:9], v[8:9], 0, 8
	v_lshl_add_u64 v[6:7], v[6:7], 0, 8
	s_cselect_b64 s[2:3], -1, 0
.LBB10_155:                             ;   in Loop: Header=BB10_156 Depth=2
	s_and_b64 vcc, exec, s[2:3]
	s_cbranch_vccnz .LBB10_161
.LBB10_156:                             ;   Parent Loop BB10_151 Depth=1
                                        ; =>  This Inner Loop Header: Depth=2
	s_add_i32 s34, s24, s29
	s_addk_i32 s34, 0xfe01
	s_cmp_lt_i32 s34, 0
	s_mov_b64 s[2:3], -1
	s_cbranch_scc1 .LBB10_155
; %bb.157:                              ;   in Loop: Header=BB10_156 Depth=2
	v_cmp_eq_u32_e32 vcc, s29, v0
	s_and_b64 s[36:37], s[18:19], vcc
	s_and_saveexec_b64 s[2:3], s[36:37]
	s_cbranch_execz .LBB10_159
; %bb.158:                              ;   in Loop: Header=BB10_156 Depth=2
	s_mul_i32 s35, s25, s31
	s_mul_hi_u32 s36, s4, s31
	s_add_i32 s37, s36, s35
	s_mul_i32 s36, s4, s31
	v_lshl_add_u64 v[10:11], v[6:7], 0, s[36:37]
	flat_load_dwordx2 v[10:11], v[10:11]
	ds_read_b64 v[12:13], v1
	s_waitcnt vmcnt(0) lgkmcnt(0)
	v_div_scale_f64 v[16:17], s[36:37], v[10:11], v[10:11], v[12:13]
	v_rcp_f64_e32 v[18:19], v[16:17]
	v_div_scale_f64 v[20:21], vcc, v[12:13], v[10:11], v[12:13]
	v_fma_f64 v[22:23], -v[16:17], v[18:19], 1.0
	v_fmac_f64_e32 v[18:19], v[18:19], v[22:23]
	v_fma_f64 v[22:23], -v[16:17], v[18:19], 1.0
	v_fmac_f64_e32 v[18:19], v[18:19], v[22:23]
	v_mul_f64 v[22:23], v[20:21], v[18:19]
	v_fma_f64 v[16:17], -v[16:17], v[22:23], v[20:21]
	v_div_fmas_f64 v[16:17], v[16:17], v[18:19], v[22:23]
	v_div_fixup_f64 v[10:11], v[16:17], v[10:11], v[12:13]
	ds_write_b64 v1, v[10:11]
.LBB10_159:                             ;   in Loop: Header=BB10_156 Depth=2
	s_or_b64 exec, exec, s[2:3]
	v_cmp_gt_u32_e32 vcc, s29, v0
	v_cmp_le_i32_e64 s[2:3], s34, v3
	s_and_b64 s[34:35], s[20:21], vcc
	s_and_b64 s[34:35], s[34:35], s[2:3]
	s_waitcnt lgkmcnt(0)
	s_barrier
	s_and_saveexec_b64 s[2:3], s[34:35]
	s_cbranch_execz .LBB10_154
; %bb.160:                              ;   in Loop: Header=BB10_156 Depth=2
	v_mov_b32_e32 v4, s31
	v_mad_u64_u32 v[10:11], s[34:35], s26, v4, v[8:9]
	s_mul_i32 s34, s27, s31
	s_nop 0
	v_add_u32_e32 v11, s34, v11
	flat_load_dwordx2 v[10:11], v[10:11]
	v_mov_b32_e32 v4, s30
	ds_read_b64 v[12:13], v4
	ds_read_b64 v[16:17], v1
	s_waitcnt vmcnt(0) lgkmcnt(0)
	v_fma_f64 v[10:11], -v[10:11], v[12:13], v[16:17]
	ds_write_b64 v1, v[10:11]
	s_branch .LBB10_154
.LBB10_161:                             ;   in Loop: Header=BB10_151 Depth=1
	s_add_i32 s43, s28, 0xfffffe00
	s_cmp_lt_i32 s28, 1
	s_cselect_b64 s[2:3], -1, 0
	s_and_b64 vcc, exec, s[2:3]
	s_waitcnt lgkmcnt(0)
	s_barrier
	s_cbranch_vccnz .LBB10_181
; %bb.162:                              ;   in Loop: Header=BB10_151 Depth=1
	s_mul_i32 s20, s27, s28
	s_mul_hi_u32 s21, s26, s28
	s_add_i32 s21, s21, s20
	s_mul_i32 s20, s26, s28
	s_add_u32 s20, s7, s20
	s_addc_u32 s21, s42, s21
	s_mov_b64 s[28:29], 0
	v_mov_b32_e32 v6, v14
	v_mov_b32_e32 v3, v0
	s_mov_b32 s44, s43
                                        ; implicit-def: $sgpr30_sgpr31
	s_branch .LBB10_165
.LBB10_163:                             ;   in Loop: Header=BB10_165 Depth=2
	v_mad_u64_u32 v[10:11], s[36:37], s8, v4, 0
	v_mov_b32_e32 v12, v11
	v_mad_u64_u32 v[12:13], s[36:37], s9, v4, v[12:13]
	v_mov_b32_e32 v11, v12
	v_lshl_add_u64 v[10:11], v[10:11], 3, s[16:17]
	flat_load_dwordx2 v[12:13], v[10:11]
	s_add_i32 s38, s44, 0xfffffe00
	s_cmp_lt_i32 s44, 1
	s_cselect_b64 s[36:37], -1, 0
	s_andn2_b64 s[30:31], s[30:31], exec
	s_and_b64 s[36:37], s[36:37], exec
	v_add_u32_e32 v6, 0xfffffe00, v6
	s_or_b64 s[30:31], s[30:31], s[36:37]
	s_mov_b32 s44, s38
	s_waitcnt vmcnt(0) lgkmcnt(0)
	v_add_f64 v[8:9], v[12:13], -v[8:9]
	flat_store_dwordx2 v[10:11], v[8:9]
.LBB10_164:                             ;   in Loop: Header=BB10_165 Depth=2
	s_or_b64 exec, exec, s[34:35]
	s_and_b64 s[34:35], exec, s[30:31]
	s_or_b64 s[28:29], s[34:35], s[28:29]
	s_andn2_b64 exec, exec, s[28:29]
	s_cbranch_execz .LBB10_180
.LBB10_165:                             ;   Parent Loop BB10_151 Depth=1
                                        ; =>  This Loop Header: Depth=2
                                        ;       Child Loop BB10_168 Depth 3
	v_add_u32_e32 v4, s44, v0
	v_cmp_lt_i32_e32 vcc, -1, v4
	s_or_b64 s[30:31], s[30:31], exec
	s_and_saveexec_b64 s[34:35], vcc
	s_cbranch_execz .LBB10_164
; %bb.166:                              ;   in Loop: Header=BB10_165 Depth=2
	v_mov_b32_e32 v7, v5
	v_lshl_add_u64 v[10:11], v[6:7], 3, s[20:21]
	v_add_u32_e32 v7, s6, v4
	v_lshl_add_u64 v[12:13], v[4:5], 3, s[14:15]
	v_add_u32_e32 v16, 0xfffffdff, v3
	v_add_u32_e32 v3, 0xfffffe00, v3
	v_mov_b64_e32 v[8:9], 0
	s_mov_b32 s45, 0
	s_movk_i32 s46, 0x2000
	s_mov_b32 s36, s33
	s_branch .LBB10_168
.LBB10_167:                             ;   in Loop: Header=BB10_168 Depth=3
	s_or_b64 exec, exec, s[38:39]
	s_add_i32 s45, s45, 2
	s_add_i32 s46, s46, 16
	s_add_i32 s36, s36, -2
	s_cmpk_eq_i32 s45, 0x200
	v_lshl_add_u64 v[10:11], v[10:11], 0, s[10:11]
	s_cbranch_scc1 .LBB10_163
.LBB10_168:                             ;   Parent Loop BB10_151 Depth=1
                                        ;     Parent Loop BB10_165 Depth=2
                                        ; =>    This Inner Loop Header: Depth=3
	v_cmp_ne_u32_e32 vcc, s45, v3
	s_add_i32 s37, s5, s45
	s_or_b64 s[38:39], s[18:19], vcc
	s_and_saveexec_b64 s[40:41], s[38:39]
	s_xor_b64 s[38:39], exec, s[40:41]
	s_cbranch_execz .LBB10_172
; %bb.169:                              ;   in Loop: Header=BB10_168 Depth=3
	s_add_i32 s40, s37, 0xfffffe00
	v_cmp_le_i32_e32 vcc, s40, v7
	s_and_saveexec_b64 s[40:41], vcc
	s_cbranch_execz .LBB10_171
; %bb.170:                              ;   in Loop: Header=BB10_168 Depth=3
	flat_load_dwordx2 v[18:19], v[10:11]
	v_mov_b32_e32 v17, s46
	ds_read_b64 v[20:21], v17
	s_waitcnt vmcnt(0) lgkmcnt(0)
	v_fmac_f64_e32 v[8:9], v[18:19], v[20:21]
.LBB10_171:                             ;   in Loop: Header=BB10_168 Depth=3
	s_or_b64 exec, exec, s[40:41]
.LBB10_172:                             ;   in Loop: Header=BB10_168 Depth=3
	s_andn2_saveexec_b64 s[38:39], s[38:39]
	s_cbranch_execz .LBB10_174
; %bb.173:                              ;   in Loop: Header=BB10_168 Depth=3
	v_mov_b32_e32 v17, s46
	ds_read_b64 v[18:19], v17
	s_waitcnt lgkmcnt(0)
	v_add_f64 v[8:9], v[8:9], v[18:19]
.LBB10_174:                             ;   in Loop: Header=BB10_168 Depth=3
	s_or_b64 exec, exec, s[38:39]
	v_cmp_ne_u32_e32 vcc, s45, v16
	s_or_b64 s[38:39], s[18:19], vcc
	s_and_saveexec_b64 s[40:41], s[38:39]
	s_xor_b64 s[38:39], exec, s[40:41]
	s_cbranch_execz .LBB10_178
; %bb.175:                              ;   in Loop: Header=BB10_168 Depth=3
	s_add_i32 s47, s37, 0xfffffe01
	v_cmp_le_i32_e32 vcc, s47, v7
	s_and_saveexec_b64 s[40:41], vcc
	s_cbranch_execz .LBB10_177
; %bb.176:                              ;   in Loop: Header=BB10_168 Depth=3
	s_mul_i32 s48, s13, s47
	s_mul_hi_u32 s49, s12, s47
	s_add_i32 s49, s49, s48
	s_mul_i32 s48, s12, s47
	s_ashr_i32 s37, s36, 31
	v_lshl_add_u64 v[18:19], s[48:49], 3, v[12:13]
	v_lshl_add_u64 v[18:19], s[36:37], 3, v[18:19]
	flat_load_dwordx2 v[18:19], v[18:19]
	v_mov_b32_e32 v17, s46
	ds_read_b64 v[20:21], v17 offset:8
	s_waitcnt vmcnt(0) lgkmcnt(0)
	v_fmac_f64_e32 v[8:9], v[18:19], v[20:21]
.LBB10_177:                             ;   in Loop: Header=BB10_168 Depth=3
	s_or_b64 exec, exec, s[40:41]
.LBB10_178:                             ;   in Loop: Header=BB10_168 Depth=3
	s_andn2_saveexec_b64 s[38:39], s[38:39]
	s_cbranch_execz .LBB10_167
; %bb.179:                              ;   in Loop: Header=BB10_168 Depth=3
	v_mov_b32_e32 v17, s46
	ds_read_b64 v[18:19], v17 offset:8
	s_waitcnt lgkmcnt(0)
	v_add_f64 v[8:9], v[8:9], v[18:19]
	s_branch .LBB10_167
.LBB10_180:                             ;   in Loop: Header=BB10_151 Depth=1
	s_or_b64 exec, exec, s[28:29]
.LBB10_181:                             ;   in Loop: Header=BB10_151 Depth=1
	s_and_saveexec_b64 s[20:21], s[0:1]
	s_cbranch_execz .LBB10_150
; %bb.182:                              ;   in Loop: Header=BB10_151 Depth=1
	ds_read_b64 v[6:7], v1
	v_mad_u64_u32 v[8:9], s[0:1], s8, v15, 0
	v_mov_b32_e32 v4, v9
	v_mad_u64_u32 v[10:11], s[0:1], s9, v15, v[4:5]
	v_mov_b32_e32 v9, v10
	v_lshl_add_u64 v[8:9], v[8:9], 3, s[16:17]
	s_waitcnt lgkmcnt(0)
	flat_store_dwordx2 v[8:9], v[6:7]
	s_branch .LBB10_150
.LBB10_183:
	s_endpgm
	.section	.rodata,"a",@progbits
	.p2align	6, 0x0
	.amdhsa_kernel _ZL19rocblas_tbsv_kernelILb1ELi512EPKPKdPKPdEv18rocblas_operation_bbiiT1_lllT2_lll
		.amdhsa_group_segment_fixed_size 16384
		.amdhsa_private_segment_fixed_size 0
		.amdhsa_kernarg_size 80
		.amdhsa_user_sgpr_count 2
		.amdhsa_user_sgpr_dispatch_ptr 0
		.amdhsa_user_sgpr_queue_ptr 0
		.amdhsa_user_sgpr_kernarg_segment_ptr 1
		.amdhsa_user_sgpr_dispatch_id 0
		.amdhsa_user_sgpr_kernarg_preload_length 0
		.amdhsa_user_sgpr_kernarg_preload_offset 0
		.amdhsa_user_sgpr_private_segment_size 0
		.amdhsa_uses_dynamic_stack 0
		.amdhsa_enable_private_segment 0
		.amdhsa_system_sgpr_workgroup_id_x 1
		.amdhsa_system_sgpr_workgroup_id_y 0
		.amdhsa_system_sgpr_workgroup_id_z 0
		.amdhsa_system_sgpr_workgroup_info 0
		.amdhsa_system_vgpr_workitem_id 0
		.amdhsa_next_free_vgpr 24
		.amdhsa_next_free_sgpr 68
		.amdhsa_accum_offset 24
		.amdhsa_reserve_vcc 1
		.amdhsa_float_round_mode_32 0
		.amdhsa_float_round_mode_16_64 0
		.amdhsa_float_denorm_mode_32 3
		.amdhsa_float_denorm_mode_16_64 3
		.amdhsa_dx10_clamp 1
		.amdhsa_ieee_mode 1
		.amdhsa_fp16_overflow 0
		.amdhsa_tg_split 0
		.amdhsa_exception_fp_ieee_invalid_op 0
		.amdhsa_exception_fp_denorm_src 0
		.amdhsa_exception_fp_ieee_div_zero 0
		.amdhsa_exception_fp_ieee_overflow 0
		.amdhsa_exception_fp_ieee_underflow 0
		.amdhsa_exception_fp_ieee_inexact 0
		.amdhsa_exception_int_div_zero 0
	.end_amdhsa_kernel
	.section	.text._ZL19rocblas_tbsv_kernelILb1ELi512EPKPKdPKPdEv18rocblas_operation_bbiiT1_lllT2_lll,"axG",@progbits,_ZL19rocblas_tbsv_kernelILb1ELi512EPKPKdPKPdEv18rocblas_operation_bbiiT1_lllT2_lll,comdat
.Lfunc_end10:
	.size	_ZL19rocblas_tbsv_kernelILb1ELi512EPKPKdPKPdEv18rocblas_operation_bbiiT1_lllT2_lll, .Lfunc_end10-_ZL19rocblas_tbsv_kernelILb1ELi512EPKPKdPKPdEv18rocblas_operation_bbiiT1_lllT2_lll
                                        ; -- End function
	.set _ZL19rocblas_tbsv_kernelILb1ELi512EPKPKdPKPdEv18rocblas_operation_bbiiT1_lllT2_lll.num_vgpr, 24
	.set _ZL19rocblas_tbsv_kernelILb1ELi512EPKPKdPKPdEv18rocblas_operation_bbiiT1_lllT2_lll.num_agpr, 0
	.set _ZL19rocblas_tbsv_kernelILb1ELi512EPKPKdPKPdEv18rocblas_operation_bbiiT1_lllT2_lll.numbered_sgpr, 68
	.set _ZL19rocblas_tbsv_kernelILb1ELi512EPKPKdPKPdEv18rocblas_operation_bbiiT1_lllT2_lll.num_named_barrier, 0
	.set _ZL19rocblas_tbsv_kernelILb1ELi512EPKPKdPKPdEv18rocblas_operation_bbiiT1_lllT2_lll.private_seg_size, 0
	.set _ZL19rocblas_tbsv_kernelILb1ELi512EPKPKdPKPdEv18rocblas_operation_bbiiT1_lllT2_lll.uses_vcc, 1
	.set _ZL19rocblas_tbsv_kernelILb1ELi512EPKPKdPKPdEv18rocblas_operation_bbiiT1_lllT2_lll.uses_flat_scratch, 0
	.set _ZL19rocblas_tbsv_kernelILb1ELi512EPKPKdPKPdEv18rocblas_operation_bbiiT1_lllT2_lll.has_dyn_sized_stack, 0
	.set _ZL19rocblas_tbsv_kernelILb1ELi512EPKPKdPKPdEv18rocblas_operation_bbiiT1_lllT2_lll.has_recursion, 0
	.set _ZL19rocblas_tbsv_kernelILb1ELi512EPKPKdPKPdEv18rocblas_operation_bbiiT1_lllT2_lll.has_indirect_call, 0
	.section	.AMDGPU.csdata,"",@progbits
; Kernel info:
; codeLenInByte = 6244
; TotalNumSgprs: 74
; NumVgprs: 24
; NumAgprs: 0
; TotalNumVgprs: 24
; ScratchSize: 0
; MemoryBound: 0
; FloatMode: 240
; IeeeMode: 1
; LDSByteSize: 16384 bytes/workgroup (compile time only)
; SGPRBlocks: 9
; VGPRBlocks: 2
; NumSGPRsForWavesPerEU: 74
; NumVGPRsForWavesPerEU: 24
; AccumOffset: 24
; Occupancy: 8
; WaveLimiterHint : 1
; COMPUTE_PGM_RSRC2:SCRATCH_EN: 0
; COMPUTE_PGM_RSRC2:USER_SGPR: 2
; COMPUTE_PGM_RSRC2:TRAP_HANDLER: 0
; COMPUTE_PGM_RSRC2:TGID_X_EN: 1
; COMPUTE_PGM_RSRC2:TGID_Y_EN: 0
; COMPUTE_PGM_RSRC2:TGID_Z_EN: 0
; COMPUTE_PGM_RSRC2:TIDIG_COMP_CNT: 0
; COMPUTE_PGM_RSRC3_GFX90A:ACCUM_OFFSET: 5
; COMPUTE_PGM_RSRC3_GFX90A:TG_SPLIT: 0
	.section	.text._ZL19rocblas_tbsv_kernelILb0ELi512EPKPKdPKPdEv18rocblas_operation_bbiiT1_lllT2_lll,"axG",@progbits,_ZL19rocblas_tbsv_kernelILb0ELi512EPKPKdPKPdEv18rocblas_operation_bbiiT1_lllT2_lll,comdat
	.globl	_ZL19rocblas_tbsv_kernelILb0ELi512EPKPKdPKPdEv18rocblas_operation_bbiiT1_lllT2_lll ; -- Begin function _ZL19rocblas_tbsv_kernelILb0ELi512EPKPKdPKPdEv18rocblas_operation_bbiiT1_lllT2_lll
	.p2align	8
	.type	_ZL19rocblas_tbsv_kernelILb0ELi512EPKPKdPKPdEv18rocblas_operation_bbiiT1_lllT2_lll,@function
_ZL19rocblas_tbsv_kernelILb0ELi512EPKPKdPKPdEv18rocblas_operation_bbiiT1_lllT2_lll: ; @_ZL19rocblas_tbsv_kernelILb0ELi512EPKPKdPKPdEv18rocblas_operation_bbiiT1_lllT2_lll
; %bb.0:
	s_load_dwordx2 s[34:35], s[0:1], 0x0
	s_load_dwordx4 s[4:7], s[0:1], 0x4
	s_load_dwordx4 s[8:11], s[0:1], 0x10
	s_load_dwordx2 s[12:13], s[0:1], 0x20
	s_mov_b32 s3, 0
	s_waitcnt lgkmcnt(0)
	s_bitcmp1_b32 s35, 0
	s_cselect_b64 s[14:15], -1, 0
	s_xor_b64 s[26:27], s[14:15], -1
	s_bitcmp1_b32 s4, 8
	s_cselect_b64 s[18:19], -1, 0
	s_lshl_b64 s[2:3], s[2:3], 3
	s_add_u32 s14, s8, s2
	s_addc_u32 s15, s9, s3
	s_load_dwordx2 s[20:21], s[14:15], 0x0
	s_load_dwordx4 s[28:31], s[0:1], 0x30
	s_load_dwordx2 s[8:9], s[0:1], 0x40
	s_lshl_b64 s[22:23], s[10:11], 3
	s_waitcnt lgkmcnt(0)
	s_add_u32 s14, s20, s22
	s_addc_u32 s15, s21, s23
	s_add_u32 s0, s28, s2
	s_addc_u32 s1, s29, s3
	s_load_dwordx2 s[0:1], s[0:1], 0x0
	s_lshl_b64 s[2:3], s[30:31], 3
	s_waitcnt lgkmcnt(0)
	s_add_u32 s16, s0, s2
	s_addc_u32 s17, s1, s3
	s_cmp_gt_i32 s5, 0
	s_cselect_b64 s[24:25], -1, 0
	s_cmpk_lg_i32 s34, 0x6f
	s_mov_b64 s[0:1], -1
	s_cbranch_scc0 .LBB11_109
; %bb.1:
	s_and_b64 vcc, exec, s[26:27]
	s_cbranch_vccz .LBB11_55
; %bb.2:
	s_andn2_b64 vcc, exec, s[24:25]
	s_cbranch_vccnz .LBB11_54
; %bb.3:
	s_ashr_i32 s1, s5, 31
	s_mov_b32 s0, s5
	s_add_i32 s33, s5, 0xfffffe00
	s_lshl_b64 s[0:1], s[0:1], 3
	s_add_u32 s0, s22, s0
	s_addc_u32 s1, s23, s1
	s_add_u32 s0, s20, s0
	s_addc_u32 s1, s21, s1
	v_mov_b32_e32 v1, 0x3000
	s_add_u32 s28, s0, 0xfffff000
	v_add_u32_e32 v2, s5, v0
	v_lshl_or_b32 v1, v0, 3, v1
	v_sub_u32_e32 v10, 0, v0
	v_add_u32_e32 v11, 0xfffffe01, v0
	s_addc_u32 s29, s1, -1
	v_add_u32_e32 v12, 0xfffffc00, v2
	s_lshl_b64 s[30:31], s[12:13], 3
	s_xor_b64 s[34:35], s[18:19], -1
	v_mov_b32_e32 v3, 0
	s_mov_b64 s[36:37], 0x1000
	s_mov_b32 s4, s5
	s_branch .LBB11_5
.LBB11_4:                               ;   in Loop: Header=BB11_5 Depth=1
	s_or_b64 exec, exec, s[38:39]
	s_addk_i32 s4, 0xfe00
	s_add_u32 s28, s28, 0xfffff000
	s_addc_u32 s29, s29, -1
	v_add_u32_e32 v12, 0xfffffe00, v12
	s_andn2_b64 vcc, exec, s[2:3]
	s_mov_b32 s33, s7
	s_waitcnt lgkmcnt(0)
	s_barrier
	s_cbranch_vccz .LBB11_54
.LBB11_5:                               ; =>This Loop Header: Depth=1
                                        ;     Child Loop BB11_10 Depth 2
                                        ;     Child Loop BB11_24 Depth 2
                                        ;       Child Loop BB11_27 Depth 3
	v_add_u32_e32 v13, s33, v0
	v_cmp_gt_i32_e32 vcc, 0, v13
	v_cmp_lt_i32_e64 s[0:1], -1, v13
	s_and_saveexec_b64 s[2:3], s[0:1]
	s_cbranch_execz .LBB11_7
; %bb.6:                                ;   in Loop: Header=BB11_5 Depth=1
	v_mad_u64_u32 v[4:5], s[38:39], s8, v13, 0
	v_mov_b32_e32 v2, v5
	v_mad_u64_u32 v[6:7], s[38:39], s9, v13, v[2:3]
	v_mov_b32_e32 v5, v6
	v_lshl_add_u64 v[4:5], v[4:5], 3, s[16:17]
	flat_load_dwordx2 v[4:5], v[4:5]
	s_waitcnt vmcnt(0) lgkmcnt(0)
	ds_write_b64 v1, v[4:5]
.LBB11_7:                               ;   in Loop: Header=BB11_5 Depth=1
	s_or_b64 exec, exec, s[2:3]
	v_ashrrev_i32_e32 v2, 31, v13
	v_mul_lo_u32 v7, s13, v13
	v_mul_lo_u32 v2, s12, v2
	v_mad_u64_u32 v[4:5], s[2:3], s12, v13, 0
	v_add3_u32 v5, v5, v2, v7
	v_add_u32_e32 v6, s6, v13
	v_lshl_add_u64 v[4:5], v[4:5], 3, s[14:15]
	s_movk_i32 s7, 0x1ff
	s_mov_b32 s40, 0
	s_movk_i32 s41, 0x3ff0
	s_xor_b64 s[38:39], vcc, -1
	s_waitcnt lgkmcnt(0)
	s_barrier
	s_branch .LBB11_10
.LBB11_8:                               ;   in Loop: Header=BB11_10 Depth=2
	s_or_b64 exec, exec, s[2:3]
	s_add_i32 s7, s7, -2
	s_add_i32 s40, s40, -2
	;; [unrolled: 1-line block ×3, first 2 shown]
	s_cmp_eq_u32 s42, 0
	s_cselect_b64 s[2:3], -1, 0
.LBB11_9:                               ;   in Loop: Header=BB11_10 Depth=2
	s_and_b64 vcc, exec, s[2:3]
	s_cbranch_vccnz .LBB11_20
.LBB11_10:                              ;   Parent Loop BB11_5 Depth=1
                                        ; =>  This Inner Loop Header: Depth=2
	s_add_i32 s42, s4, s40
	s_add_i32 s43, s42, -1
	s_cmp_lt_i32 s43, 0
	s_mov_b64 s[2:3], -1
	s_cbranch_scc1 .LBB11_9
; %bb.11:                               ;   in Loop: Header=BB11_10 Depth=2
	v_cmp_eq_u32_e32 vcc, s40, v11
	s_and_b64 s[44:45], s[34:35], vcc
	s_and_saveexec_b64 s[2:3], s[44:45]
	s_cbranch_execz .LBB11_13
; %bb.12:                               ;   in Loop: Header=BB11_10 Depth=2
	s_mul_i32 s44, s13, s43
	s_mul_hi_u32 s45, s12, s43
	s_add_i32 s45, s45, s44
	s_mul_i32 s44, s12, s43
	s_lshl_b64 s[44:45], s[44:45], 3
	s_add_u32 s44, s14, s44
	s_addc_u32 s45, s15, s45
	v_mov_b64_e32 v[8:9], s[44:45]
	flat_load_dwordx2 v[8:9], v[8:9]
	ds_read_b64 v[14:15], v1
	s_waitcnt vmcnt(0) lgkmcnt(0)
	v_div_scale_f64 v[16:17], s[44:45], v[8:9], v[8:9], v[14:15]
	v_rcp_f64_e32 v[18:19], v[16:17]
	v_div_scale_f64 v[20:21], vcc, v[14:15], v[8:9], v[14:15]
	v_fma_f64 v[22:23], -v[16:17], v[18:19], 1.0
	v_fmac_f64_e32 v[18:19], v[18:19], v[22:23]
	v_fma_f64 v[22:23], -v[16:17], v[18:19], 1.0
	v_fmac_f64_e32 v[18:19], v[18:19], v[22:23]
	v_mul_f64 v[22:23], v[20:21], v[18:19]
	v_fma_f64 v[16:17], -v[16:17], v[22:23], v[20:21]
	v_div_fmas_f64 v[16:17], v[16:17], v[18:19], v[22:23]
	v_div_fixup_f64 v[8:9], v[16:17], v[8:9], v[14:15]
	ds_write_b64 v1, v[8:9]
.LBB11_13:                              ;   in Loop: Header=BB11_10 Depth=2
	s_or_b64 exec, exec, s[2:3]
	v_cmp_gt_u32_e32 vcc, s7, v0
	v_cmp_le_i32_e64 s[2:3], s43, v6
	s_and_b64 s[44:45], s[38:39], vcc
	s_and_b64 s[44:45], s[44:45], s[2:3]
	s_waitcnt lgkmcnt(0)
	s_barrier
	s_and_saveexec_b64 s[2:3], s[44:45]
	s_cbranch_execz .LBB11_15
; %bb.14:                               ;   in Loop: Header=BB11_10 Depth=2
	v_add_u32_e32 v2, s40, v10
	v_add_u32_e32 v2, 0x1ff, v2
	v_lshl_add_u64 v[8:9], v[2:3], 3, v[4:5]
	flat_load_dwordx2 v[8:9], v[8:9]
	v_mov_b32_e32 v2, s41
	ds_read_b64 v[14:15], v2 offset:8
	ds_read_b64 v[16:17], v1
	s_waitcnt vmcnt(0) lgkmcnt(0)
	v_fma_f64 v[8:9], -v[8:9], v[14:15], v[16:17]
	ds_write_b64 v1, v[8:9]
.LBB11_15:                              ;   in Loop: Header=BB11_10 Depth=2
	s_or_b64 exec, exec, s[2:3]
	s_add_i32 s43, s42, -2
	s_cmp_lt_i32 s43, 0
	s_mov_b64 s[2:3], -1
	s_cbranch_scc1 .LBB11_9
; %bb.16:                               ;   in Loop: Header=BB11_10 Depth=2
	s_add_i32 s42, s7, -1
	v_cmp_eq_u32_e32 vcc, s42, v0
	s_and_b64 s[44:45], s[34:35], vcc
	s_and_saveexec_b64 s[2:3], s[44:45]
	s_cbranch_execz .LBB11_18
; %bb.17:                               ;   in Loop: Header=BB11_10 Depth=2
	s_mul_i32 s44, s13, s43
	s_mul_hi_u32 s45, s12, s43
	s_add_i32 s45, s45, s44
	s_mul_i32 s44, s12, s43
	s_lshl_b64 s[44:45], s[44:45], 3
	s_add_u32 s44, s14, s44
	s_addc_u32 s45, s15, s45
	v_mov_b64_e32 v[8:9], s[44:45]
	flat_load_dwordx2 v[8:9], v[8:9]
	ds_read_b64 v[14:15], v1
	s_waitcnt vmcnt(0) lgkmcnt(0)
	v_div_scale_f64 v[16:17], s[44:45], v[8:9], v[8:9], v[14:15]
	v_rcp_f64_e32 v[18:19], v[16:17]
	v_div_scale_f64 v[20:21], vcc, v[14:15], v[8:9], v[14:15]
	v_fma_f64 v[22:23], -v[16:17], v[18:19], 1.0
	v_fmac_f64_e32 v[18:19], v[18:19], v[22:23]
	v_fma_f64 v[22:23], -v[16:17], v[18:19], 1.0
	v_fmac_f64_e32 v[18:19], v[18:19], v[22:23]
	v_mul_f64 v[22:23], v[20:21], v[18:19]
	v_fma_f64 v[16:17], -v[16:17], v[22:23], v[20:21]
	v_div_fmas_f64 v[16:17], v[16:17], v[18:19], v[22:23]
	v_div_fixup_f64 v[8:9], v[16:17], v[8:9], v[14:15]
	ds_write_b64 v1, v[8:9]
.LBB11_18:                              ;   in Loop: Header=BB11_10 Depth=2
	s_or_b64 exec, exec, s[2:3]
	v_cmp_gt_u32_e32 vcc, s42, v0
	v_cmp_le_i32_e64 s[2:3], s43, v6
	s_and_b64 s[44:45], s[38:39], vcc
	s_and_b64 s[44:45], s[44:45], s[2:3]
	s_waitcnt lgkmcnt(0)
	s_barrier
	s_and_saveexec_b64 s[2:3], s[44:45]
	s_cbranch_execz .LBB11_8
; %bb.19:                               ;   in Loop: Header=BB11_10 Depth=2
	v_add_u32_e32 v2, s40, v10
	v_add_u32_e32 v2, 0x1fe, v2
	v_lshl_add_u64 v[8:9], v[2:3], 3, v[4:5]
	flat_load_dwordx2 v[8:9], v[8:9]
	v_mov_b32_e32 v2, s41
	ds_read_b64 v[14:15], v2
	ds_read_b64 v[16:17], v1
	s_waitcnt vmcnt(0) lgkmcnt(0)
	v_fma_f64 v[8:9], -v[8:9], v[14:15], v[16:17]
	ds_write_b64 v1, v[8:9]
	s_branch .LBB11_8
.LBB11_20:                              ;   in Loop: Header=BB11_5 Depth=1
	s_add_i32 s7, s33, 0xfffffe00
	s_cmp_lt_i32 s33, 1
	s_cselect_b64 s[2:3], -1, 0
	s_and_b64 vcc, exec, s[2:3]
	s_waitcnt lgkmcnt(0)
	s_barrier
	s_cbranch_vccnz .LBB11_52
; %bb.21:                               ;   in Loop: Header=BB11_5 Depth=1
	v_mad_i64_i32 v[4:5], s[38:39], v12, -8, s[28:29]
	s_mov_b64 s[38:39], 0
	v_mov_b32_e32 v2, v12
	v_mov_b32_e32 v14, v0
	s_mov_b32 s33, s7
                                        ; implicit-def: $sgpr40_sgpr41
	s_branch .LBB11_24
.LBB11_22:                              ;   in Loop: Header=BB11_24 Depth=2
	v_mad_u64_u32 v[8:9], s[44:45], s8, v15, 0
	v_mov_b32_e32 v16, v9
	v_mad_u64_u32 v[16:17], s[44:45], s9, v15, v[16:17]
	v_mov_b32_e32 v9, v16
	v_lshl_add_u64 v[8:9], v[8:9], 3, s[16:17]
	flat_load_dwordx2 v[16:17], v[8:9]
	s_add_i32 s46, s33, 0xfffffe00
	s_cmp_lt_i32 s33, 1
	s_cselect_b64 s[44:45], -1, 0
	s_andn2_b64 s[40:41], s[40:41], exec
	s_and_b64 s[44:45], s[44:45], exec
	v_lshl_add_u64 v[4:5], v[4:5], 0, s[36:37]
	v_add_u32_e32 v2, 0xfffffe00, v2
	s_or_b64 s[40:41], s[40:41], s[44:45]
	s_mov_b32 s33, s46
	s_waitcnt vmcnt(0) lgkmcnt(0)
	v_add_f64 v[6:7], v[16:17], -v[6:7]
	flat_store_dwordx2 v[8:9], v[6:7]
.LBB11_23:                              ;   in Loop: Header=BB11_24 Depth=2
	s_or_b64 exec, exec, s[42:43]
	s_and_b64 s[42:43], exec, s[40:41]
	s_or_b64 s[38:39], s[42:43], s[38:39]
	s_andn2_b64 exec, exec, s[38:39]
	s_cbranch_execz .LBB11_51
.LBB11_24:                              ;   Parent Loop BB11_5 Depth=1
                                        ; =>  This Loop Header: Depth=2
                                        ;       Child Loop BB11_27 Depth 3
	v_add_u32_e32 v15, s33, v0
	v_cmp_lt_i32_e32 vcc, -1, v15
	s_or_b64 s[40:41], s[40:41], exec
	s_and_saveexec_b64 s[42:43], vcc
	s_cbranch_execz .LBB11_23
; %bb.25:                               ;   in Loop: Header=BB11_24 Depth=2
	v_mad_u64_u32 v[8:9], s[44:45], s30, v2, v[4:5]
	v_mov_b32_e32 v6, v9
	v_mad_u64_u32 v[6:7], s[44:45], s31, v2, v[6:7]
	v_mov_b32_e32 v9, v6
	v_add_u32_e32 v16, s6, v15
	v_add_u32_e32 v17, 0xfffffdfd, v14
	;; [unrolled: 1-line block ×5, first 2 shown]
	v_mov_b64_e32 v[6:7], 0
	s_mov_b32 s48, 0
	s_movk_i32 s49, 0x3000
	s_branch .LBB11_27
.LBB11_26:                              ;   in Loop: Header=BB11_27 Depth=3
	s_or_b64 exec, exec, s[44:45]
	s_add_i32 s48, s48, 4
	s_add_i32 s49, s49, 32
	s_cmpk_eq_i32 s48, 0x200
	v_lshl_add_u64 v[8:9], v[8:9], 0, 32
	s_cbranch_scc1 .LBB11_22
.LBB11_27:                              ;   Parent Loop BB11_5 Depth=1
                                        ;     Parent Loop BB11_24 Depth=2
                                        ; =>    This Inner Loop Header: Depth=3
	v_cmp_ne_u32_e32 vcc, s48, v14
	s_add_i32 s50, s4, s48
	s_or_b64 s[44:45], s[34:35], vcc
	s_and_saveexec_b64 s[46:47], s[44:45]
	s_xor_b64 s[44:45], exec, s[46:47]
	s_cbranch_execz .LBB11_31
; %bb.28:                               ;   in Loop: Header=BB11_27 Depth=3
	s_add_i32 s46, s50, 0xfffffe00
	v_cmp_le_i32_e32 vcc, s46, v16
	s_and_saveexec_b64 s[46:47], vcc
	s_cbranch_execz .LBB11_30
; %bb.29:                               ;   in Loop: Header=BB11_27 Depth=3
	flat_load_dwordx2 v[20:21], v[8:9]
	v_mov_b32_e32 v22, s49
	ds_read_b64 v[22:23], v22
	s_waitcnt vmcnt(0) lgkmcnt(0)
	v_fmac_f64_e32 v[6:7], v[20:21], v[22:23]
.LBB11_30:                              ;   in Loop: Header=BB11_27 Depth=3
	s_or_b64 exec, exec, s[46:47]
.LBB11_31:                              ;   in Loop: Header=BB11_27 Depth=3
	s_andn2_saveexec_b64 s[44:45], s[44:45]
	s_cbranch_execz .LBB11_33
; %bb.32:                               ;   in Loop: Header=BB11_27 Depth=3
	v_mov_b32_e32 v20, s49
	ds_read_b64 v[20:21], v20
	s_waitcnt lgkmcnt(0)
	v_add_f64 v[6:7], v[6:7], v[20:21]
.LBB11_33:                              ;   in Loop: Header=BB11_27 Depth=3
	s_or_b64 exec, exec, s[44:45]
	v_cmp_ne_u32_e32 vcc, s48, v19
	s_or_b64 s[44:45], s[34:35], vcc
	s_and_saveexec_b64 s[46:47], s[44:45]
	s_xor_b64 s[44:45], exec, s[46:47]
	s_cbranch_execz .LBB11_37
; %bb.34:                               ;   in Loop: Header=BB11_27 Depth=3
	s_add_i32 s46, s50, 0xfffffe01
	v_cmp_le_i32_e32 vcc, s46, v16
	s_and_saveexec_b64 s[46:47], vcc
	s_cbranch_execz .LBB11_36
; %bb.35:                               ;   in Loop: Header=BB11_27 Depth=3
	flat_load_dwordx2 v[20:21], v[8:9] offset:8
	v_mov_b32_e32 v22, s49
	ds_read_b64 v[22:23], v22 offset:8
	s_waitcnt vmcnt(0) lgkmcnt(0)
	v_fmac_f64_e32 v[6:7], v[20:21], v[22:23]
.LBB11_36:                              ;   in Loop: Header=BB11_27 Depth=3
	s_or_b64 exec, exec, s[46:47]
.LBB11_37:                              ;   in Loop: Header=BB11_27 Depth=3
	s_andn2_saveexec_b64 s[44:45], s[44:45]
	s_cbranch_execz .LBB11_39
; %bb.38:                               ;   in Loop: Header=BB11_27 Depth=3
	v_mov_b32_e32 v20, s49
	ds_read_b64 v[20:21], v20 offset:8
	s_waitcnt lgkmcnt(0)
	v_add_f64 v[6:7], v[6:7], v[20:21]
.LBB11_39:                              ;   in Loop: Header=BB11_27 Depth=3
	s_or_b64 exec, exec, s[44:45]
	v_cmp_ne_u32_e32 vcc, s48, v18
	s_or_b64 s[44:45], s[34:35], vcc
	s_and_saveexec_b64 s[46:47], s[44:45]
	s_xor_b64 s[44:45], exec, s[46:47]
	s_cbranch_execz .LBB11_43
; %bb.40:                               ;   in Loop: Header=BB11_27 Depth=3
	s_add_i32 s46, s50, 0xfffffe02
	v_cmp_le_i32_e32 vcc, s46, v16
	s_and_saveexec_b64 s[46:47], vcc
	s_cbranch_execz .LBB11_42
; %bb.41:                               ;   in Loop: Header=BB11_27 Depth=3
	flat_load_dwordx2 v[20:21], v[8:9] offset:16
	v_mov_b32_e32 v22, s49
	ds_read_b64 v[22:23], v22 offset:16
	s_waitcnt vmcnt(0) lgkmcnt(0)
	v_fmac_f64_e32 v[6:7], v[20:21], v[22:23]
.LBB11_42:                              ;   in Loop: Header=BB11_27 Depth=3
	s_or_b64 exec, exec, s[46:47]
.LBB11_43:                              ;   in Loop: Header=BB11_27 Depth=3
	s_andn2_saveexec_b64 s[44:45], s[44:45]
	s_cbranch_execz .LBB11_45
; %bb.44:                               ;   in Loop: Header=BB11_27 Depth=3
	v_mov_b32_e32 v20, s49
	ds_read_b64 v[20:21], v20 offset:16
	s_waitcnt lgkmcnt(0)
	v_add_f64 v[6:7], v[6:7], v[20:21]
.LBB11_45:                              ;   in Loop: Header=BB11_27 Depth=3
	s_or_b64 exec, exec, s[44:45]
	v_cmp_ne_u32_e32 vcc, s48, v17
	s_or_b64 s[44:45], s[34:35], vcc
	s_and_saveexec_b64 s[46:47], s[44:45]
	s_xor_b64 s[44:45], exec, s[46:47]
	s_cbranch_execz .LBB11_49
; %bb.46:                               ;   in Loop: Header=BB11_27 Depth=3
	s_addk_i32 s50, 0xfe03
	v_cmp_le_i32_e32 vcc, s50, v16
	s_and_saveexec_b64 s[46:47], vcc
	s_cbranch_execz .LBB11_48
; %bb.47:                               ;   in Loop: Header=BB11_27 Depth=3
	flat_load_dwordx2 v[20:21], v[8:9] offset:24
	v_mov_b32_e32 v22, s49
	ds_read_b64 v[22:23], v22 offset:24
	s_waitcnt vmcnt(0) lgkmcnt(0)
	v_fmac_f64_e32 v[6:7], v[20:21], v[22:23]
.LBB11_48:                              ;   in Loop: Header=BB11_27 Depth=3
	s_or_b64 exec, exec, s[46:47]
.LBB11_49:                              ;   in Loop: Header=BB11_27 Depth=3
	s_andn2_saveexec_b64 s[44:45], s[44:45]
	s_cbranch_execz .LBB11_26
; %bb.50:                               ;   in Loop: Header=BB11_27 Depth=3
	v_mov_b32_e32 v20, s49
	ds_read_b64 v[20:21], v20 offset:24
	s_waitcnt lgkmcnt(0)
	v_add_f64 v[6:7], v[6:7], v[20:21]
	s_branch .LBB11_26
.LBB11_51:                              ;   in Loop: Header=BB11_5 Depth=1
	s_or_b64 exec, exec, s[38:39]
.LBB11_52:                              ;   in Loop: Header=BB11_5 Depth=1
	s_and_saveexec_b64 s[38:39], s[0:1]
	s_cbranch_execz .LBB11_4
; %bb.53:                               ;   in Loop: Header=BB11_5 Depth=1
	ds_read_b64 v[4:5], v1
	v_mad_u64_u32 v[6:7], s[0:1], s8, v13, 0
	v_mov_b32_e32 v2, v7
	v_mad_u64_u32 v[8:9], s[0:1], s9, v13, v[2:3]
	v_mov_b32_e32 v7, v8
	v_lshl_add_u64 v[6:7], v[6:7], 3, s[16:17]
	s_waitcnt lgkmcnt(0)
	flat_store_dwordx2 v[6:7], v[4:5]
	s_branch .LBB11_4
.LBB11_54:
	s_mov_b64 s[0:1], 0
.LBB11_55:
	s_andn2_b64 vcc, exec, s[0:1]
	s_cbranch_vccnz .LBB11_108
; %bb.56:
	s_andn2_b64 vcc, exec, s[24:25]
	s_cbranch_vccnz .LBB11_108
; %bb.57:
	s_ashr_i32 s7, s6, 31
	s_lshl_b64 s[0:1], s[12:13], 3
	s_lshl_b64 s[2:3], s[6:7], 3
	s_add_u32 s4, s0, s2
	s_addc_u32 s7, s1, s3
	s_add_u32 s28, s20, s4
	s_addc_u32 s29, s21, s7
	s_lshl_b64 s[30:31], s[12:13], 12
	s_lshl_b64 s[34:35], s[12:13], 4
	s_add_u32 s36, s30, 0x1000
	s_addc_u32 s37, s31, 0
	s_add_u32 s0, s0, -8
	s_addc_u32 s4, s1, -1
	s_add_u32 s38, s20, s2
	s_addc_u32 s39, s21, s3
	v_mov_b64_e32 v[2:3], s[38:39]
	v_mad_u64_u32 v[2:3], s[0:1], s0, v0, v[2:3]
	v_mov_b32_e32 v4, v3
	v_mad_u64_u32 v[4:5], s[0:1], s4, v0, v[4:5]
	v_or_b32_e32 v12, 0x200, v0
	v_mov_b32_e32 v3, v4
	v_mad_u64_u32 v[4:5], s[0:1], s12, v12, 0
	v_mov_b32_e32 v6, v5
	v_mad_u64_u32 v[6:7], s[0:1], s13, v12, v[6:7]
	s_add_u32 s0, s38, s22
	s_addc_u32 s1, s39, s23
	v_mov_b32_e32 v1, 0x1000
	v_mov_b32_e32 v5, v6
	s_add_u32 s40, s30, 0xfffff000
	v_lshl_or_b32 v1, v0, 3, v1
	v_lshl_add_u64 v[4:5], v[4:5], 3, s[0:1]
	s_addc_u32 s41, s31, -1
	s_mov_b32 s4, 0
	s_xor_b64 s[42:43], s[18:19], -1
	s_branch .LBB11_59
.LBB11_58:                              ;   in Loop: Header=BB11_59 Depth=1
	s_or_b64 exec, exec, s[44:45]
	s_add_u32 s28, s28, s30
	s_addc_u32 s29, s29, s31
	s_add_u32 s38, s38, s30
	v_lshl_add_u64 v[2:3], v[2:3], 0, s[30:31]
	s_addc_u32 s39, s39, s31
	v_lshl_add_u64 v[4:5], v[4:5], 0, s[36:37]
	v_add_u32_e32 v12, 0x200, v12
	s_and_b64 vcc, exec, s[2:3]
	s_mov_b32 s4, s7
	s_waitcnt lgkmcnt(0)
	s_barrier
	s_cbranch_vccnz .LBB11_108
.LBB11_59:                              ; =>This Loop Header: Depth=1
                                        ;     Child Loop BB11_63 Depth 2
                                        ;     Child Loop BB11_78 Depth 2
                                        ;       Child Loop BB11_81 Depth 3
	v_add_u32_e32 v13, s4, v0
	v_cmp_le_i32_e32 vcc, s5, v13
	v_cmp_gt_i32_e64 s[0:1], s5, v13
	s_and_saveexec_b64 s[2:3], s[0:1]
	s_cbranch_execz .LBB11_61
; %bb.60:                               ;   in Loop: Header=BB11_59 Depth=1
	v_mad_u64_u32 v[6:7], s[44:45], s8, v13, 0
	v_mov_b32_e32 v8, v7
	v_mad_u64_u32 v[8:9], s[44:45], s9, v13, v[8:9]
	v_mov_b32_e32 v7, v8
	v_lshl_add_u64 v[6:7], v[6:7], 3, s[16:17]
	flat_load_dwordx2 v[6:7], v[6:7]
	s_waitcnt vmcnt(0) lgkmcnt(0)
	ds_write_b64 v1, v[6:7]
.LBB11_61:                              ;   in Loop: Header=BB11_59 Depth=1
	s_or_b64 exec, exec, s[2:3]
	v_subrev_u32_e32 v8, s6, v13
	s_mov_b32 s33, 0
	s_movk_i32 s7, 0x1000
	s_xor_b64 s[44:45], vcc, -1
	s_mov_b64 s[48:49], s[38:39]
	v_mov_b64_e32 v[6:7], v[2:3]
	s_mov_b64 s[46:47], s[28:29]
	s_waitcnt lgkmcnt(0)
	s_barrier
	s_branch .LBB11_63
.LBB11_62:                              ;   in Loop: Header=BB11_63 Depth=2
                                        ; implicit-def: $sgpr33
                                        ; implicit-def: $sgpr7
                                        ; implicit-def: $sgpr46_sgpr47
                                        ; implicit-def: $vgpr6_vgpr7
                                        ; implicit-def: $sgpr48_sgpr49
	s_cbranch_execnz .LBB11_74
.LBB11_63:                              ;   Parent Loop BB11_59 Depth=1
                                        ; =>  This Inner Loop Header: Depth=2
	s_add_i32 s50, s4, s33
	s_cmp_ge_i32 s50, s5
	s_cbranch_scc1 .LBB11_62
; %bb.64:                               ;   in Loop: Header=BB11_63 Depth=2
	v_cmp_eq_u32_e32 vcc, s33, v0
	s_and_b64 s[52:53], s[42:43], vcc
	s_and_saveexec_b64 s[2:3], s[52:53]
	s_cbranch_execz .LBB11_66
; %bb.65:                               ;   in Loop: Header=BB11_63 Depth=2
	s_add_u32 s52, s48, s22
	s_addc_u32 s53, s49, s23
	v_mov_b64_e32 v[10:11], s[52:53]
	flat_load_dwordx2 v[10:11], v[10:11]
	ds_read_b64 v[14:15], v1
	s_waitcnt vmcnt(0) lgkmcnt(0)
	v_div_scale_f64 v[16:17], s[52:53], v[10:11], v[10:11], v[14:15]
	v_rcp_f64_e32 v[18:19], v[16:17]
	v_div_scale_f64 v[20:21], vcc, v[14:15], v[10:11], v[14:15]
	v_fma_f64 v[22:23], -v[16:17], v[18:19], 1.0
	v_fmac_f64_e32 v[18:19], v[18:19], v[22:23]
	v_fma_f64 v[22:23], -v[16:17], v[18:19], 1.0
	v_fmac_f64_e32 v[18:19], v[18:19], v[22:23]
	v_mul_f64 v[22:23], v[20:21], v[18:19]
	v_fma_f64 v[16:17], -v[16:17], v[22:23], v[20:21]
	v_div_fmas_f64 v[16:17], v[16:17], v[18:19], v[22:23]
	v_div_fixup_f64 v[10:11], v[16:17], v[10:11], v[14:15]
	ds_write_b64 v1, v[10:11]
.LBB11_66:                              ;   in Loop: Header=BB11_63 Depth=2
	s_or_b64 exec, exec, s[2:3]
	v_cmp_lt_u32_e32 vcc, s33, v0
	v_cmp_ge_i32_e64 s[2:3], s50, v8
	s_and_b64 s[52:53], s[44:45], vcc
	s_and_b64 s[52:53], s[52:53], s[2:3]
	s_waitcnt lgkmcnt(0)
	s_barrier
	s_and_saveexec_b64 s[2:3], s[52:53]
	s_cbranch_execz .LBB11_68
; %bb.67:                               ;   in Loop: Header=BB11_63 Depth=2
	v_lshl_add_u64 v[10:11], v[6:7], 0, s[22:23]
	flat_load_dwordx2 v[10:11], v[10:11]
	v_mov_b32_e32 v9, s7
	ds_read_b64 v[14:15], v9
	ds_read_b64 v[16:17], v1
	s_waitcnt vmcnt(0) lgkmcnt(0)
	v_fma_f64 v[10:11], -v[10:11], v[14:15], v[16:17]
	ds_write_b64 v1, v[10:11]
.LBB11_68:                              ;   in Loop: Header=BB11_63 Depth=2
	s_or_b64 exec, exec, s[2:3]
	s_add_i32 s50, s50, 1
	s_cmp_ge_i32 s50, s5
	s_cbranch_scc1 .LBB11_62
; %bb.69:                               ;   in Loop: Header=BB11_63 Depth=2
	s_add_i32 s33, s33, 1
	v_cmp_eq_u32_e32 vcc, s33, v0
	s_and_b64 s[52:53], s[42:43], vcc
	s_and_saveexec_b64 s[2:3], s[52:53]
	s_cbranch_execz .LBB11_71
; %bb.70:                               ;   in Loop: Header=BB11_63 Depth=2
	s_add_u32 s52, s46, s22
	s_addc_u32 s53, s47, s23
	v_mov_b64_e32 v[10:11], s[52:53]
	flat_load_dwordx2 v[10:11], v[10:11]
	ds_read_b64 v[14:15], v1
	s_waitcnt vmcnt(0) lgkmcnt(0)
	v_div_scale_f64 v[16:17], s[52:53], v[10:11], v[10:11], v[14:15]
	v_rcp_f64_e32 v[18:19], v[16:17]
	v_div_scale_f64 v[20:21], vcc, v[14:15], v[10:11], v[14:15]
	v_fma_f64 v[22:23], -v[16:17], v[18:19], 1.0
	v_fmac_f64_e32 v[18:19], v[18:19], v[22:23]
	v_fma_f64 v[22:23], -v[16:17], v[18:19], 1.0
	v_fmac_f64_e32 v[18:19], v[18:19], v[22:23]
	v_mul_f64 v[22:23], v[20:21], v[18:19]
	v_fma_f64 v[16:17], -v[16:17], v[22:23], v[20:21]
	v_div_fmas_f64 v[16:17], v[16:17], v[18:19], v[22:23]
	v_div_fixup_f64 v[10:11], v[16:17], v[10:11], v[14:15]
	ds_write_b64 v1, v[10:11]
.LBB11_71:                              ;   in Loop: Header=BB11_63 Depth=2
	s_or_b64 exec, exec, s[2:3]
	v_cmp_lt_u32_e32 vcc, s33, v0
	v_cmp_ge_i32_e64 s[2:3], s50, v8
	s_and_b64 s[50:51], s[44:45], vcc
	s_and_b64 s[50:51], s[50:51], s[2:3]
	s_waitcnt lgkmcnt(0)
	s_barrier
	s_and_saveexec_b64 s[2:3], s[50:51]
	s_cbranch_execz .LBB11_73
; %bb.72:                               ;   in Loop: Header=BB11_63 Depth=2
	v_lshl_add_u64 v[10:11], v[6:7], 0, s[22:23]
	flat_load_dwordx2 v[10:11], v[10:11] offset:8
	v_mov_b32_e32 v9, s7
	ds_read_b64 v[14:15], v9 offset:8
	ds_read_b64 v[16:17], v1
	s_waitcnt vmcnt(0) lgkmcnt(0)
	v_fma_f64 v[10:11], -v[10:11], v[14:15], v[16:17]
	ds_write_b64 v1, v[10:11]
.LBB11_73:                              ;   in Loop: Header=BB11_63 Depth=2
	s_or_b64 exec, exec, s[2:3]
	s_add_i32 s7, s7, 16
	s_add_u32 s46, s46, s34
	s_addc_u32 s47, s47, s35
	s_add_u32 s48, s48, s34
	s_addc_u32 s49, s49, s35
	s_add_i32 s33, s33, 1
	s_cmpk_eq_i32 s33, 0x200
	v_lshl_add_u64 v[6:7], v[6:7], 0, 16
	s_cselect_b64 s[2:3], -1, 0
	s_and_b64 vcc, exec, s[2:3]
	s_cbranch_vccz .LBB11_63
.LBB11_74:                              ;   in Loop: Header=BB11_59 Depth=1
	s_add_i32 s7, s4, 0x200
	s_cmp_ge_i32 s7, s5
	s_cselect_b64 s[2:3], -1, 0
	s_and_b64 vcc, exec, s[2:3]
	s_waitcnt lgkmcnt(0)
	s_barrier
	s_cbranch_vccnz .LBB11_106
; %bb.75:                               ;   in Loop: Header=BB11_59 Depth=1
	v_mad_i64_i32 v[6:7], s[44:45], v12, -8, v[4:5]
	s_mov_b64 s[44:45], 0
	v_mov_b32_e32 v14, v0
	s_mov_b32 s33, s7
                                        ; implicit-def: $sgpr46_sgpr47
	s_branch .LBB11_78
.LBB11_76:                              ;   in Loop: Header=BB11_78 Depth=2
	v_mad_u64_u32 v[10:11], s[50:51], s8, v15, 0
	v_mov_b32_e32 v16, v11
	v_mad_u64_u32 v[16:17], s[50:51], s9, v15, v[16:17]
	v_mov_b32_e32 v11, v16
	v_lshl_add_u64 v[10:11], v[10:11], 3, s[16:17]
	flat_load_dwordx2 v[16:17], v[10:11]
	s_addk_i32 s33, 0x200
	s_cmp_ge_i32 s33, s5
	s_cselect_b64 s[50:51], -1, 0
	s_andn2_b64 s[46:47], s[46:47], exec
	s_and_b64 s[50:51], s[50:51], exec
	v_lshl_add_u64 v[6:7], v[6:7], 0, s[40:41]
	s_or_b64 s[46:47], s[46:47], s[50:51]
	s_waitcnt vmcnt(0) lgkmcnt(0)
	v_add_f64 v[8:9], v[16:17], -v[8:9]
	flat_store_dwordx2 v[10:11], v[8:9]
.LBB11_77:                              ;   in Loop: Header=BB11_78 Depth=2
	s_or_b64 exec, exec, s[48:49]
	s_and_b64 s[48:49], exec, s[46:47]
	s_or_b64 s[44:45], s[48:49], s[44:45]
	s_andn2_b64 exec, exec, s[44:45]
	s_cbranch_execz .LBB11_105
.LBB11_78:                              ;   Parent Loop BB11_59 Depth=1
                                        ; =>  This Loop Header: Depth=2
                                        ;       Child Loop BB11_81 Depth 3
	v_add_u32_e32 v15, s33, v0
	v_cmp_gt_i32_e32 vcc, s5, v15
	s_or_b64 s[46:47], s[46:47], exec
	s_and_saveexec_b64 s[48:49], vcc
	s_cbranch_execz .LBB11_77
; %bb.79:                               ;   in Loop: Header=BB11_78 Depth=2
	v_subrev_u32_e32 v16, s6, v15
	v_add_u32_e32 v17, 0x1fd, v14
	v_add_u32_e32 v18, 0x1fe, v14
	;; [unrolled: 1-line block ×4, first 2 shown]
	v_mov_b64_e32 v[8:9], 0
	s_mov_b32 s54, 0
	s_movk_i32 s55, 0x1000
	v_mov_b64_e32 v[10:11], v[6:7]
	s_branch .LBB11_81
.LBB11_80:                              ;   in Loop: Header=BB11_81 Depth=3
	s_or_b64 exec, exec, s[50:51]
	s_add_i32 s54, s54, 4
	s_add_i32 s55, s55, 32
	s_cmpk_eq_i32 s54, 0x200
	v_lshl_add_u64 v[10:11], v[10:11], 0, 32
	s_cbranch_scc1 .LBB11_76
.LBB11_81:                              ;   Parent Loop BB11_59 Depth=1
                                        ;     Parent Loop BB11_78 Depth=2
                                        ; =>    This Inner Loop Header: Depth=3
	v_cmp_ne_u32_e32 vcc, s54, v14
	s_add_i32 s56, s4, s54
	s_or_b64 s[50:51], s[42:43], vcc
	s_and_saveexec_b64 s[52:53], s[50:51]
	s_xor_b64 s[50:51], exec, s[52:53]
	s_cbranch_execz .LBB11_85
; %bb.82:                               ;   in Loop: Header=BB11_81 Depth=3
	s_cmp_lt_i32 s56, s5
	s_cselect_b64 s[52:53], -1, 0
	v_cmp_ge_i32_e32 vcc, s56, v16
	s_and_b64 s[58:59], s[52:53], vcc
	s_and_saveexec_b64 s[52:53], s[58:59]
	s_cbranch_execz .LBB11_84
; %bb.83:                               ;   in Loop: Header=BB11_81 Depth=3
	flat_load_dwordx2 v[20:21], v[10:11]
	v_mov_b32_e32 v22, s55
	ds_read_b64 v[22:23], v22
	s_waitcnt vmcnt(0) lgkmcnt(0)
	v_fmac_f64_e32 v[8:9], v[20:21], v[22:23]
.LBB11_84:                              ;   in Loop: Header=BB11_81 Depth=3
	s_or_b64 exec, exec, s[52:53]
.LBB11_85:                              ;   in Loop: Header=BB11_81 Depth=3
	s_andn2_saveexec_b64 s[50:51], s[50:51]
	s_cbranch_execz .LBB11_87
; %bb.86:                               ;   in Loop: Header=BB11_81 Depth=3
	v_mov_b32_e32 v20, s55
	ds_read_b64 v[20:21], v20
	s_waitcnt lgkmcnt(0)
	v_add_f64 v[8:9], v[8:9], v[20:21]
.LBB11_87:                              ;   in Loop: Header=BB11_81 Depth=3
	s_or_b64 exec, exec, s[50:51]
	v_cmp_ne_u32_e32 vcc, s54, v19
	s_or_b64 s[50:51], s[42:43], vcc
	s_and_saveexec_b64 s[52:53], s[50:51]
	s_xor_b64 s[50:51], exec, s[52:53]
	s_cbranch_execz .LBB11_91
; %bb.88:                               ;   in Loop: Header=BB11_81 Depth=3
	s_add_i32 s57, s56, 1
	s_cmp_lt_i32 s57, s5
	s_cselect_b64 s[52:53], -1, 0
	v_cmp_ge_i32_e32 vcc, s57, v16
	s_and_b64 s[58:59], s[52:53], vcc
	s_and_saveexec_b64 s[52:53], s[58:59]
	s_cbranch_execz .LBB11_90
; %bb.89:                               ;   in Loop: Header=BB11_81 Depth=3
	flat_load_dwordx2 v[20:21], v[10:11] offset:8
	v_mov_b32_e32 v22, s55
	ds_read_b64 v[22:23], v22 offset:8
	s_waitcnt vmcnt(0) lgkmcnt(0)
	v_fmac_f64_e32 v[8:9], v[20:21], v[22:23]
.LBB11_90:                              ;   in Loop: Header=BB11_81 Depth=3
	s_or_b64 exec, exec, s[52:53]
.LBB11_91:                              ;   in Loop: Header=BB11_81 Depth=3
	s_andn2_saveexec_b64 s[50:51], s[50:51]
	s_cbranch_execz .LBB11_93
; %bb.92:                               ;   in Loop: Header=BB11_81 Depth=3
	v_mov_b32_e32 v20, s55
	ds_read_b64 v[20:21], v20 offset:8
	s_waitcnt lgkmcnt(0)
	v_add_f64 v[8:9], v[8:9], v[20:21]
.LBB11_93:                              ;   in Loop: Header=BB11_81 Depth=3
	s_or_b64 exec, exec, s[50:51]
	v_cmp_ne_u32_e32 vcc, s54, v18
	s_or_b64 s[50:51], s[42:43], vcc
	s_and_saveexec_b64 s[52:53], s[50:51]
	s_xor_b64 s[50:51], exec, s[52:53]
	s_cbranch_execz .LBB11_97
; %bb.94:                               ;   in Loop: Header=BB11_81 Depth=3
	s_add_i32 s57, s56, 2
	s_cmp_lt_i32 s57, s5
	s_cselect_b64 s[52:53], -1, 0
	v_cmp_ge_i32_e32 vcc, s57, v16
	s_and_b64 s[58:59], s[52:53], vcc
	s_and_saveexec_b64 s[52:53], s[58:59]
	s_cbranch_execz .LBB11_96
; %bb.95:                               ;   in Loop: Header=BB11_81 Depth=3
	flat_load_dwordx2 v[20:21], v[10:11] offset:16
	v_mov_b32_e32 v22, s55
	ds_read_b64 v[22:23], v22 offset:16
	s_waitcnt vmcnt(0) lgkmcnt(0)
	v_fmac_f64_e32 v[8:9], v[20:21], v[22:23]
.LBB11_96:                              ;   in Loop: Header=BB11_81 Depth=3
	s_or_b64 exec, exec, s[52:53]
.LBB11_97:                              ;   in Loop: Header=BB11_81 Depth=3
	s_andn2_saveexec_b64 s[50:51], s[50:51]
	s_cbranch_execz .LBB11_99
; %bb.98:                               ;   in Loop: Header=BB11_81 Depth=3
	v_mov_b32_e32 v20, s55
	ds_read_b64 v[20:21], v20 offset:16
	s_waitcnt lgkmcnt(0)
	v_add_f64 v[8:9], v[8:9], v[20:21]
.LBB11_99:                              ;   in Loop: Header=BB11_81 Depth=3
	s_or_b64 exec, exec, s[50:51]
	v_cmp_ne_u32_e32 vcc, s54, v17
	s_or_b64 s[50:51], s[42:43], vcc
	s_and_saveexec_b64 s[52:53], s[50:51]
	s_xor_b64 s[50:51], exec, s[52:53]
	s_cbranch_execz .LBB11_103
; %bb.100:                              ;   in Loop: Header=BB11_81 Depth=3
	s_add_i32 s56, s56, 3
	s_cmp_lt_i32 s56, s5
	s_cselect_b64 s[52:53], -1, 0
	v_cmp_ge_i32_e32 vcc, s56, v16
	s_and_b64 s[56:57], s[52:53], vcc
	s_and_saveexec_b64 s[52:53], s[56:57]
	s_cbranch_execz .LBB11_102
; %bb.101:                              ;   in Loop: Header=BB11_81 Depth=3
	flat_load_dwordx2 v[20:21], v[10:11] offset:24
	v_mov_b32_e32 v22, s55
	ds_read_b64 v[22:23], v22 offset:24
	s_waitcnt vmcnt(0) lgkmcnt(0)
	v_fmac_f64_e32 v[8:9], v[20:21], v[22:23]
.LBB11_102:                             ;   in Loop: Header=BB11_81 Depth=3
	s_or_b64 exec, exec, s[52:53]
.LBB11_103:                             ;   in Loop: Header=BB11_81 Depth=3
	s_andn2_saveexec_b64 s[50:51], s[50:51]
	s_cbranch_execz .LBB11_80
; %bb.104:                              ;   in Loop: Header=BB11_81 Depth=3
	v_mov_b32_e32 v20, s55
	ds_read_b64 v[20:21], v20 offset:24
	s_waitcnt lgkmcnt(0)
	v_add_f64 v[8:9], v[8:9], v[20:21]
	s_branch .LBB11_80
.LBB11_105:                             ;   in Loop: Header=BB11_59 Depth=1
	s_or_b64 exec, exec, s[44:45]
.LBB11_106:                             ;   in Loop: Header=BB11_59 Depth=1
	s_and_saveexec_b64 s[44:45], s[0:1]
	s_cbranch_execz .LBB11_58
; %bb.107:                              ;   in Loop: Header=BB11_59 Depth=1
	ds_read_b64 v[6:7], v1
	v_mad_u64_u32 v[8:9], s[0:1], s8, v13, 0
	v_mov_b32_e32 v10, v9
	v_mad_u64_u32 v[10:11], s[0:1], s9, v13, v[10:11]
	v_mov_b32_e32 v9, v10
	v_lshl_add_u64 v[8:9], v[8:9], 3, s[16:17]
	s_waitcnt lgkmcnt(0)
	flat_store_dwordx2 v[8:9], v[6:7]
	s_branch .LBB11_58
.LBB11_108:
	s_mov_b64 s[0:1], 0
.LBB11_109:
	s_andn2_b64 vcc, exec, s[0:1]
	s_cbranch_vccnz .LBB11_183
; %bb.110:
	s_mov_b64 s[0:1], -1
	s_and_b64 vcc, exec, s[26:27]
	s_cbranch_vccz .LBB11_147
; %bb.111:
	s_andn2_b64 vcc, exec, s[24:25]
	s_cbranch_vccnz .LBB11_146
; %bb.112:
	s_lshl_b64 s[26:27], s[12:13], 12
	s_lshl_b64 s[28:29], s[12:13], 3
	s_add_u32 s30, s20, s28
	s_addc_u32 s31, s21, s29
	s_lshl_b64 s[0:1], s[12:13], 4
	s_add_u32 s4, s0, -16
	v_lshlrev_b32_e32 v1, 3, v0
	v_or_b32_e32 v2, 0x200, v0
	s_addc_u32 s7, s1, -1
	s_mov_b32 s33, 0
	s_mov_b64 s[34:35], -1
	s_mov_b64 s[36:37], 0
	s_xor_b64 s[38:39], s[18:19], -1
	v_mov_b32_e32 v5, 0
	s_mov_b64 s[40:41], 0
	s_mov_b64 s[42:43], s[14:15]
	s_branch .LBB11_114
.LBB11_113:                             ;   in Loop: Header=BB11_114 Depth=1
	s_or_b64 exec, exec, s[44:45]
	s_add_u32 s42, s42, s26
	s_addc_u32 s43, s43, s27
	s_add_u32 s34, s34, 0xfffffe00
	s_addc_u32 s35, s35, -1
	s_add_u32 s40, s40, s26
	s_addc_u32 s41, s41, s27
	s_add_u32 s36, s36, 0xfffffe00
	v_add_u32_e32 v2, 0x200, v2
	s_addc_u32 s37, s37, -1
	s_and_b64 vcc, exec, s[2:3]
	s_mov_b32 s33, s60
	s_waitcnt lgkmcnt(0)
	s_barrier
	s_cbranch_vccnz .LBB11_146
.LBB11_114:                             ; =>This Loop Header: Depth=1
                                        ;     Child Loop BB11_118 Depth 2
                                        ;     Child Loop BB11_128 Depth 2
                                        ;       Child Loop BB11_131 Depth 3
	v_add_u32_e32 v12, s33, v0
	v_cmp_le_i32_e32 vcc, s5, v12
	v_cmp_gt_i32_e64 s[0:1], s5, v12
	s_and_saveexec_b64 s[2:3], s[0:1]
	s_cbranch_execz .LBB11_116
; %bb.115:                              ;   in Loop: Header=BB11_114 Depth=1
	v_mad_u64_u32 v[6:7], s[44:45], s8, v12, 0
	v_mov_b32_e32 v4, v7
	v_mad_u64_u32 v[8:9], s[44:45], s9, v12, v[4:5]
	v_mov_b32_e32 v7, v8
	v_lshl_add_u64 v[6:7], v[6:7], 3, s[16:17]
	flat_load_dwordx2 v[6:7], v[6:7]
	s_waitcnt vmcnt(0) lgkmcnt(0)
	ds_write_b64 v1, v[6:7]
.LBB11_116:                             ;   in Loop: Header=BB11_114 Depth=1
	s_or_b64 exec, exec, s[2:3]
	v_subrev_u32_e32 v3, s6, v12
	s_mov_b32 s48, 0
	s_xor_b64 s[44:45], vcc, -1
	s_mov_b64 s[46:47], s[42:43]
	v_mov_b32_e32 v4, v0
	s_mov_b32 s49, 0
	s_waitcnt lgkmcnt(0)
	s_barrier
	s_branch .LBB11_118
.LBB11_117:                             ;   in Loop: Header=BB11_118 Depth=2
	s_or_b64 exec, exec, s[2:3]
	s_add_i32 s49, s49, 1
	s_add_i32 s48, s48, 8
	s_add_u32 s46, s46, s28
	s_addc_u32 s47, s47, s29
	s_cmpk_eq_i32 s49, 0x200
	v_add_u32_e32 v4, -1, v4
	s_cselect_b64 s[2:3], -1, 0
	s_and_b64 vcc, exec, s[2:3]
	s_cbranch_vccnz .LBB11_124
.LBB11_118:                             ;   Parent Loop BB11_114 Depth=1
                                        ; =>  This Inner Loop Header: Depth=2
	s_add_i32 s50, s33, s49
	s_cmp_ge_i32 s50, s5
	s_cbranch_scc1 .LBB11_123
; %bb.119:                              ;   in Loop: Header=BB11_118 Depth=2
	v_cmp_eq_u32_e32 vcc, s49, v0
	s_and_b64 s[52:53], s[38:39], vcc
	s_and_saveexec_b64 s[2:3], s[52:53]
	s_cbranch_execz .LBB11_121
; %bb.120:                              ;   in Loop: Header=BB11_118 Depth=2
	v_mov_b64_e32 v[6:7], s[46:47]
	flat_load_dwordx2 v[6:7], v[6:7]
	ds_read_b64 v[8:9], v1
	s_waitcnt vmcnt(0) lgkmcnt(0)
	v_div_scale_f64 v[10:11], s[52:53], v[6:7], v[6:7], v[8:9]
	v_rcp_f64_e32 v[14:15], v[10:11]
	v_div_scale_f64 v[16:17], vcc, v[8:9], v[6:7], v[8:9]
	v_fma_f64 v[18:19], -v[10:11], v[14:15], 1.0
	v_fmac_f64_e32 v[14:15], v[14:15], v[18:19]
	v_fma_f64 v[18:19], -v[10:11], v[14:15], 1.0
	v_fmac_f64_e32 v[14:15], v[14:15], v[18:19]
	v_mul_f64 v[18:19], v[16:17], v[14:15]
	v_fma_f64 v[10:11], -v[10:11], v[18:19], v[16:17]
	v_div_fmas_f64 v[10:11], v[10:11], v[14:15], v[18:19]
	v_div_fixup_f64 v[6:7], v[10:11], v[6:7], v[8:9]
	ds_write_b64 v1, v[6:7]
.LBB11_121:                             ;   in Loop: Header=BB11_118 Depth=2
	s_or_b64 exec, exec, s[2:3]
	v_cmp_lt_u32_e32 vcc, s49, v0
	v_cmp_ge_i32_e64 s[2:3], s50, v3
	s_and_b64 s[50:51], s[44:45], vcc
	s_and_b64 s[50:51], s[50:51], s[2:3]
	s_waitcnt lgkmcnt(0)
	s_barrier
	s_and_saveexec_b64 s[2:3], s[50:51]
	s_cbranch_execz .LBB11_117
; %bb.122:                              ;   in Loop: Header=BB11_118 Depth=2
	v_lshl_add_u64 v[6:7], v[4:5], 3, s[46:47]
	flat_load_dwordx2 v[6:7], v[6:7]
	v_mov_b32_e32 v8, s48
	ds_read_b64 v[8:9], v8
	ds_read_b64 v[10:11], v1
	s_waitcnt vmcnt(0) lgkmcnt(0)
	v_fma_f64 v[6:7], -v[6:7], v[8:9], v[10:11]
	ds_write_b64 v1, v[6:7]
	s_branch .LBB11_117
.LBB11_123:                             ;   in Loop: Header=BB11_118 Depth=2
                                        ; implicit-def: $sgpr49
                                        ; implicit-def: $sgpr48
                                        ; implicit-def: $sgpr46_sgpr47
	s_cbranch_execz .LBB11_118
.LBB11_124:                             ;   in Loop: Header=BB11_114 Depth=1
	s_add_i32 s60, s33, 0x200
	s_cmp_ge_i32 s60, s5
	s_cselect_b64 s[2:3], -1, 0
	s_and_b64 vcc, exec, s[2:3]
	s_waitcnt lgkmcnt(0)
	s_barrier
	s_cbranch_vccnz .LBB11_144
; %bb.125:                              ;   in Loop: Header=BB11_114 Depth=1
	v_ashrrev_i32_e32 v3, 31, v2
	v_lshl_add_u64 v[6:7], s[34:35], 0, v[2:3]
	v_lshl_add_u64 v[8:9], s[36:37], 0, v[2:3]
	v_lshlrev_b64 v[6:7], 3, v[6:7]
	v_lshlrev_b64 v[8:9], 3, v[8:9]
	s_mov_b64 s[44:45], 0
	s_mov_b64 s[46:47], s[40:41]
	v_mov_b32_e32 v3, v0
	s_mov_b32 s61, s60
                                        ; implicit-def: $sgpr48_sgpr49
	s_branch .LBB11_128
.LBB11_126:                             ;   in Loop: Header=BB11_128 Depth=2
	v_mad_u64_u32 v[14:15], s[52:53], s8, v4, 0
	v_mov_b32_e32 v16, v15
	v_mad_u64_u32 v[16:17], s[52:53], s9, v4, v[16:17]
	v_mov_b32_e32 v15, v16
	v_lshl_add_u64 v[14:15], v[14:15], 3, s[16:17]
	flat_load_dwordx2 v[16:17], v[14:15]
	s_addk_i32 s61, 0x200
	s_add_u32 s46, s46, 0x1000
	s_addc_u32 s47, s47, 0
	s_cmp_ge_i32 s61, s5
	s_cselect_b64 s[52:53], -1, 0
	s_andn2_b64 s[48:49], s[48:49], exec
	s_and_b64 s[52:53], s[52:53], exec
	s_or_b64 s[48:49], s[48:49], s[52:53]
	s_waitcnt vmcnt(0) lgkmcnt(0)
	v_add_f64 v[10:11], v[16:17], -v[10:11]
	flat_store_dwordx2 v[14:15], v[10:11]
.LBB11_127:                             ;   in Loop: Header=BB11_128 Depth=2
	s_or_b64 exec, exec, s[50:51]
	s_and_b64 s[50:51], exec, s[48:49]
	s_or_b64 s[44:45], s[50:51], s[44:45]
	s_andn2_b64 exec, exec, s[44:45]
	s_cbranch_execz .LBB11_143
.LBB11_128:                             ;   Parent Loop BB11_114 Depth=1
                                        ; =>  This Loop Header: Depth=2
                                        ;       Child Loop BB11_131 Depth 3
	v_add_u32_e32 v4, s61, v0
	v_cmp_gt_i32_e32 vcc, s5, v4
	s_or_b64 s[48:49], s[48:49], exec
	s_and_saveexec_b64 s[50:51], vcc
	s_cbranch_execz .LBB11_127
; %bb.129:                              ;   in Loop: Header=BB11_128 Depth=2
	v_subrev_u32_e32 v13, s6, v4
	v_add_u32_e32 v14, 0x1ff, v3
	v_add_u32_e32 v3, 0x200, v3
	v_mov_b64_e32 v[10:11], 0
	s_mov_b32 s62, 0
	s_mov_b64 s[52:53], s[20:21]
	s_mov_b64 s[54:55], s[30:31]
	s_mov_b32 s63, 0
	s_branch .LBB11_131
.LBB11_130:                             ;   in Loop: Header=BB11_131 Depth=3
	s_or_b64 exec, exec, s[56:57]
	s_add_i32 s63, s63, 2
	s_add_u32 s54, s54, s4
	s_addc_u32 s55, s55, s7
	s_add_i32 s62, s62, 16
	s_add_u32 s52, s52, s4
	s_addc_u32 s53, s53, s7
	s_cmpk_eq_i32 s63, 0x200
	s_cbranch_scc1 .LBB11_126
.LBB11_131:                             ;   Parent Loop BB11_114 Depth=1
                                        ;     Parent Loop BB11_128 Depth=2
                                        ; =>    This Inner Loop Header: Depth=3
	v_cmp_ne_u32_e32 vcc, s63, v3
	s_add_i32 s64, s33, s63
	s_or_b64 s[56:57], s[38:39], vcc
	s_and_saveexec_b64 s[58:59], s[56:57]
	s_xor_b64 s[56:57], exec, s[58:59]
	s_cbranch_execz .LBB11_135
; %bb.132:                              ;   in Loop: Header=BB11_131 Depth=3
	s_cmp_lt_i32 s64, s5
	s_cselect_b64 s[58:59], -1, 0
	v_cmp_ge_i32_e32 vcc, s64, v13
	s_and_b64 s[66:67], s[58:59], vcc
	s_and_saveexec_b64 s[58:59], s[66:67]
	s_cbranch_execz .LBB11_134
; %bb.133:                              ;   in Loop: Header=BB11_131 Depth=3
	s_add_u32 s66, s52, s22
	s_addc_u32 s67, s53, s23
	v_lshl_add_u64 v[16:17], s[66:67], 0, v[8:9]
	v_lshl_add_u64 v[16:17], v[16:17], 0, s[46:47]
	flat_load_dwordx2 v[16:17], v[16:17]
	v_mov_b32_e32 v15, s62
	ds_read_b64 v[18:19], v15
	s_waitcnt vmcnt(0) lgkmcnt(0)
	v_fmac_f64_e32 v[10:11], v[16:17], v[18:19]
.LBB11_134:                             ;   in Loop: Header=BB11_131 Depth=3
	s_or_b64 exec, exec, s[58:59]
.LBB11_135:                             ;   in Loop: Header=BB11_131 Depth=3
	s_andn2_saveexec_b64 s[56:57], s[56:57]
	s_cbranch_execz .LBB11_137
; %bb.136:                              ;   in Loop: Header=BB11_131 Depth=3
	v_mov_b32_e32 v15, s62
	ds_read_b64 v[16:17], v15
	s_waitcnt lgkmcnt(0)
	v_add_f64 v[10:11], v[10:11], v[16:17]
.LBB11_137:                             ;   in Loop: Header=BB11_131 Depth=3
	s_or_b64 exec, exec, s[56:57]
	v_cmp_ne_u32_e32 vcc, s63, v14
	s_or_b64 s[56:57], s[38:39], vcc
	s_and_saveexec_b64 s[58:59], s[56:57]
	s_xor_b64 s[56:57], exec, s[58:59]
	s_cbranch_execz .LBB11_141
; %bb.138:                              ;   in Loop: Header=BB11_131 Depth=3
	s_add_i32 s64, s64, 1
	s_cmp_lt_i32 s64, s5
	s_cselect_b64 s[58:59], -1, 0
	v_cmp_ge_i32_e32 vcc, s64, v13
	s_and_b64 s[64:65], s[58:59], vcc
	s_and_saveexec_b64 s[58:59], s[64:65]
	s_cbranch_execz .LBB11_140
; %bb.139:                              ;   in Loop: Header=BB11_131 Depth=3
	s_add_u32 s64, s54, s22
	s_addc_u32 s65, s55, s23
	v_lshl_add_u64 v[16:17], s[64:65], 0, v[6:7]
	v_lshl_add_u64 v[16:17], v[16:17], 0, s[46:47]
	flat_load_dwordx2 v[16:17], v[16:17]
	v_mov_b32_e32 v15, s62
	ds_read_b64 v[18:19], v15 offset:8
	s_waitcnt vmcnt(0) lgkmcnt(0)
	v_fmac_f64_e32 v[10:11], v[16:17], v[18:19]
.LBB11_140:                             ;   in Loop: Header=BB11_131 Depth=3
	s_or_b64 exec, exec, s[58:59]
.LBB11_141:                             ;   in Loop: Header=BB11_131 Depth=3
	s_andn2_saveexec_b64 s[56:57], s[56:57]
	s_cbranch_execz .LBB11_130
; %bb.142:                              ;   in Loop: Header=BB11_131 Depth=3
	v_mov_b32_e32 v15, s62
	ds_read_b64 v[16:17], v15 offset:8
	s_waitcnt lgkmcnt(0)
	v_add_f64 v[10:11], v[10:11], v[16:17]
	s_branch .LBB11_130
.LBB11_143:                             ;   in Loop: Header=BB11_114 Depth=1
	s_or_b64 exec, exec, s[44:45]
.LBB11_144:                             ;   in Loop: Header=BB11_114 Depth=1
	s_and_saveexec_b64 s[44:45], s[0:1]
	s_cbranch_execz .LBB11_113
; %bb.145:                              ;   in Loop: Header=BB11_114 Depth=1
	ds_read_b64 v[6:7], v1
	v_mad_u64_u32 v[8:9], s[0:1], s8, v12, 0
	v_mov_b32_e32 v4, v9
	v_mad_u64_u32 v[10:11], s[0:1], s9, v12, v[4:5]
	v_mov_b32_e32 v9, v10
	v_lshl_add_u64 v[8:9], v[8:9], 3, s[16:17]
	s_waitcnt lgkmcnt(0)
	flat_store_dwordx2 v[8:9], v[6:7]
	s_branch .LBB11_113
.LBB11_146:
	s_mov_b64 s[0:1], 0
.LBB11_147:
	s_andn2_b64 vcc, exec, s[0:1]
	s_cbranch_vccnz .LBB11_183
; %bb.148:
	s_andn2_b64 vcc, exec, s[24:25]
	s_cbranch_vccnz .LBB11_183
; %bb.149:
	s_ashr_i32 s7, s6, 31
	s_add_i32 s28, s5, 0xfffffe00
	s_add_i32 s24, s5, -1
	s_lshl_b64 s[0:1], s[6:7], 3
	s_add_u32 s2, s22, s0
	s_addc_u32 s3, s23, s1
	s_ashr_i32 s25, s24, 31
	s_lshl_b64 s[0:1], s[24:25], 3
	s_sub_u32 s0, s2, s0
	s_subb_u32 s1, s3, s1
	s_add_u32 s22, s20, s0
	s_addc_u32 s23, s21, s1
	s_lshl_b64 s[26:27], s[12:13], 3
	s_add_u32 s4, s26, 8
	s_addc_u32 s25, s27, 0
	s_sub_i32 s0, s6, s5
	s_add_i32 s33, s0, 0x1ff
	s_add_u32 s0, s10, s6
	s_addc_u32 s1, s11, s7
	s_ashr_i32 s3, s5, 31
	s_mov_b32 s2, s5
	s_lshl_b64 s[0:1], s[0:1], 3
	s_lshl_b64 s[2:3], s[2:3], 3
	s_sub_u32 s0, s0, s2
	s_subb_u32 s1, s1, s3
	s_add_u32 s0, s20, s0
	s_addc_u32 s1, s21, s1
	s_add_u32 s7, s0, 0x1000
	s_addc_u32 s42, s1, 0
	s_lshl_b64 s[0:1], s[12:13], 4
	v_mov_b32_e32 v1, 0x2000
	v_add_u32_e32 v3, s5, v0
	s_add_u32 s10, s0, -16
	v_lshl_or_b32 v1, v0, 3, v1
	v_add_u32_e32 v2, 0xfffffe00, v3
	v_add_u32_e32 v14, 0xfffffc00, v3
	s_addc_u32 s11, s1, -1
	v_mov_b32_e32 v5, 0
	s_xor_b64 s[18:19], s[18:19], -1
	s_branch .LBB11_151
.LBB11_150:                             ;   in Loop: Header=BB11_151 Depth=1
	s_or_b64 exec, exec, s[20:21]
	s_addk_i32 s24, 0xfe00
	s_add_u32 s22, s22, 0x1000
	s_addc_u32 s23, s23, 0
	s_addk_i32 s5, 0xfe00
	s_addk_i32 s33, 0x200
	s_add_u32 s7, s7, 0x1000
	v_add_u32_e32 v2, 0xfffffe00, v2
	s_addc_u32 s42, s42, 0
	v_add_u32_e32 v14, 0xfffffe00, v14
	s_and_b64 vcc, exec, s[2:3]
	s_mov_b32 s28, s43
	s_waitcnt lgkmcnt(0)
	s_barrier
	s_cbranch_vccnz .LBB11_183
.LBB11_151:                             ; =>This Loop Header: Depth=1
                                        ;     Child Loop BB11_156 Depth 2
                                        ;     Child Loop BB11_165 Depth 2
                                        ;       Child Loop BB11_168 Depth 3
	v_add_u32_e32 v15, s28, v0
	v_cmp_gt_i32_e32 vcc, 0, v15
	v_cmp_lt_i32_e64 s[0:1], -1, v15
	s_and_saveexec_b64 s[2:3], s[0:1]
	s_cbranch_execz .LBB11_153
; %bb.152:                              ;   in Loop: Header=BB11_151 Depth=1
	v_mad_u64_u32 v[6:7], s[20:21], s8, v15, 0
	v_mov_b32_e32 v4, v7
	v_mad_u64_u32 v[8:9], s[20:21], s9, v15, v[4:5]
	v_mov_b32_e32 v7, v8
	v_lshl_add_u64 v[6:7], v[6:7], 3, s[16:17]
	flat_load_dwordx2 v[6:7], v[6:7]
	s_waitcnt vmcnt(0) lgkmcnt(0)
	ds_write_b64 v1, v[6:7]
.LBB11_153:                             ;   in Loop: Header=BB11_151 Depth=1
	s_or_b64 exec, exec, s[2:3]
	v_mov_b32_e32 v3, v5
	v_mov_b64_e32 v[6:7], s[22:23]
	v_lshl_add_u64 v[8:9], v[2:3], 3, s[22:23]
	v_add_u32_e32 v3, s6, v15
	s_movk_i32 s29, 0x1ff
	s_movk_i32 s30, 0x2ff8
	s_xor_b64 s[20:21], vcc, -1
	s_mov_b32 s31, s24
	s_waitcnt lgkmcnt(0)
	s_barrier
	s_branch .LBB11_156
.LBB11_154:                             ;   in Loop: Header=BB11_156 Depth=2
	s_or_b64 exec, exec, s[2:3]
	s_add_i32 s29, s29, -1
	s_add_i32 s30, s30, -8
	;; [unrolled: 1-line block ×3, first 2 shown]
	s_cmp_eq_u32 s29, -1
	v_lshl_add_u64 v[8:9], v[8:9], 0, 8
	v_lshl_add_u64 v[6:7], v[6:7], 0, 8
	s_cselect_b64 s[2:3], -1, 0
.LBB11_155:                             ;   in Loop: Header=BB11_156 Depth=2
	s_and_b64 vcc, exec, s[2:3]
	s_cbranch_vccnz .LBB11_161
.LBB11_156:                             ;   Parent Loop BB11_151 Depth=1
                                        ; =>  This Inner Loop Header: Depth=2
	s_add_i32 s34, s24, s29
	s_addk_i32 s34, 0xfe01
	s_cmp_lt_i32 s34, 0
	s_mov_b64 s[2:3], -1
	s_cbranch_scc1 .LBB11_155
; %bb.157:                              ;   in Loop: Header=BB11_156 Depth=2
	v_cmp_eq_u32_e32 vcc, s29, v0
	s_and_b64 s[36:37], s[18:19], vcc
	s_and_saveexec_b64 s[2:3], s[36:37]
	s_cbranch_execz .LBB11_159
; %bb.158:                              ;   in Loop: Header=BB11_156 Depth=2
	s_mul_i32 s35, s25, s31
	s_mul_hi_u32 s36, s4, s31
	s_add_i32 s37, s36, s35
	s_mul_i32 s36, s4, s31
	v_lshl_add_u64 v[10:11], v[6:7], 0, s[36:37]
	flat_load_dwordx2 v[10:11], v[10:11]
	ds_read_b64 v[12:13], v1
	s_waitcnt vmcnt(0) lgkmcnt(0)
	v_div_scale_f64 v[16:17], s[36:37], v[10:11], v[10:11], v[12:13]
	v_rcp_f64_e32 v[18:19], v[16:17]
	v_div_scale_f64 v[20:21], vcc, v[12:13], v[10:11], v[12:13]
	v_fma_f64 v[22:23], -v[16:17], v[18:19], 1.0
	v_fmac_f64_e32 v[18:19], v[18:19], v[22:23]
	v_fma_f64 v[22:23], -v[16:17], v[18:19], 1.0
	v_fmac_f64_e32 v[18:19], v[18:19], v[22:23]
	v_mul_f64 v[22:23], v[20:21], v[18:19]
	v_fma_f64 v[16:17], -v[16:17], v[22:23], v[20:21]
	v_div_fmas_f64 v[16:17], v[16:17], v[18:19], v[22:23]
	v_div_fixup_f64 v[10:11], v[16:17], v[10:11], v[12:13]
	ds_write_b64 v1, v[10:11]
.LBB11_159:                             ;   in Loop: Header=BB11_156 Depth=2
	s_or_b64 exec, exec, s[2:3]
	v_cmp_gt_u32_e32 vcc, s29, v0
	v_cmp_le_i32_e64 s[2:3], s34, v3
	s_and_b64 s[34:35], s[20:21], vcc
	s_and_b64 s[34:35], s[34:35], s[2:3]
	s_waitcnt lgkmcnt(0)
	s_barrier
	s_and_saveexec_b64 s[2:3], s[34:35]
	s_cbranch_execz .LBB11_154
; %bb.160:                              ;   in Loop: Header=BB11_156 Depth=2
	v_mov_b32_e32 v4, s31
	v_mad_u64_u32 v[10:11], s[34:35], s26, v4, v[8:9]
	s_mul_i32 s34, s27, s31
	s_nop 0
	v_add_u32_e32 v11, s34, v11
	flat_load_dwordx2 v[10:11], v[10:11]
	v_mov_b32_e32 v4, s30
	ds_read_b64 v[12:13], v4
	ds_read_b64 v[16:17], v1
	s_waitcnt vmcnt(0) lgkmcnt(0)
	v_fma_f64 v[10:11], -v[10:11], v[12:13], v[16:17]
	ds_write_b64 v1, v[10:11]
	s_branch .LBB11_154
.LBB11_161:                             ;   in Loop: Header=BB11_151 Depth=1
	s_add_i32 s43, s28, 0xfffffe00
	s_cmp_lt_i32 s28, 1
	s_cselect_b64 s[2:3], -1, 0
	s_and_b64 vcc, exec, s[2:3]
	s_waitcnt lgkmcnt(0)
	s_barrier
	s_cbranch_vccnz .LBB11_181
; %bb.162:                              ;   in Loop: Header=BB11_151 Depth=1
	s_mul_i32 s20, s27, s28
	s_mul_hi_u32 s21, s26, s28
	s_add_i32 s21, s21, s20
	s_mul_i32 s20, s26, s28
	s_add_u32 s20, s7, s20
	s_addc_u32 s21, s42, s21
	s_mov_b64 s[28:29], 0
	v_mov_b32_e32 v6, v14
	v_mov_b32_e32 v3, v0
	s_mov_b32 s44, s43
                                        ; implicit-def: $sgpr30_sgpr31
	s_branch .LBB11_165
.LBB11_163:                             ;   in Loop: Header=BB11_165 Depth=2
	v_mad_u64_u32 v[10:11], s[36:37], s8, v4, 0
	v_mov_b32_e32 v12, v11
	v_mad_u64_u32 v[12:13], s[36:37], s9, v4, v[12:13]
	v_mov_b32_e32 v11, v12
	v_lshl_add_u64 v[10:11], v[10:11], 3, s[16:17]
	flat_load_dwordx2 v[12:13], v[10:11]
	s_add_i32 s38, s44, 0xfffffe00
	s_cmp_lt_i32 s44, 1
	s_cselect_b64 s[36:37], -1, 0
	s_andn2_b64 s[30:31], s[30:31], exec
	s_and_b64 s[36:37], s[36:37], exec
	v_add_u32_e32 v6, 0xfffffe00, v6
	s_or_b64 s[30:31], s[30:31], s[36:37]
	s_mov_b32 s44, s38
	s_waitcnt vmcnt(0) lgkmcnt(0)
	v_add_f64 v[8:9], v[12:13], -v[8:9]
	flat_store_dwordx2 v[10:11], v[8:9]
.LBB11_164:                             ;   in Loop: Header=BB11_165 Depth=2
	s_or_b64 exec, exec, s[34:35]
	s_and_b64 s[34:35], exec, s[30:31]
	s_or_b64 s[28:29], s[34:35], s[28:29]
	s_andn2_b64 exec, exec, s[28:29]
	s_cbranch_execz .LBB11_180
.LBB11_165:                             ;   Parent Loop BB11_151 Depth=1
                                        ; =>  This Loop Header: Depth=2
                                        ;       Child Loop BB11_168 Depth 3
	v_add_u32_e32 v4, s44, v0
	v_cmp_lt_i32_e32 vcc, -1, v4
	s_or_b64 s[30:31], s[30:31], exec
	s_and_saveexec_b64 s[34:35], vcc
	s_cbranch_execz .LBB11_164
; %bb.166:                              ;   in Loop: Header=BB11_165 Depth=2
	v_mov_b32_e32 v7, v5
	v_lshl_add_u64 v[10:11], v[6:7], 3, s[20:21]
	v_add_u32_e32 v7, s6, v4
	v_lshl_add_u64 v[12:13], v[4:5], 3, s[14:15]
	v_add_u32_e32 v16, 0xfffffdff, v3
	v_add_u32_e32 v3, 0xfffffe00, v3
	v_mov_b64_e32 v[8:9], 0
	s_mov_b32 s45, 0
	s_movk_i32 s46, 0x2000
	s_mov_b32 s36, s33
	s_branch .LBB11_168
.LBB11_167:                             ;   in Loop: Header=BB11_168 Depth=3
	s_or_b64 exec, exec, s[38:39]
	s_add_i32 s45, s45, 2
	s_add_i32 s46, s46, 16
	s_add_i32 s36, s36, -2
	s_cmpk_eq_i32 s45, 0x200
	v_lshl_add_u64 v[10:11], v[10:11], 0, s[10:11]
	s_cbranch_scc1 .LBB11_163
.LBB11_168:                             ;   Parent Loop BB11_151 Depth=1
                                        ;     Parent Loop BB11_165 Depth=2
                                        ; =>    This Inner Loop Header: Depth=3
	v_cmp_ne_u32_e32 vcc, s45, v3
	s_add_i32 s37, s5, s45
	s_or_b64 s[38:39], s[18:19], vcc
	s_and_saveexec_b64 s[40:41], s[38:39]
	s_xor_b64 s[38:39], exec, s[40:41]
	s_cbranch_execz .LBB11_172
; %bb.169:                              ;   in Loop: Header=BB11_168 Depth=3
	s_add_i32 s40, s37, 0xfffffe00
	v_cmp_le_i32_e32 vcc, s40, v7
	s_and_saveexec_b64 s[40:41], vcc
	s_cbranch_execz .LBB11_171
; %bb.170:                              ;   in Loop: Header=BB11_168 Depth=3
	flat_load_dwordx2 v[18:19], v[10:11]
	v_mov_b32_e32 v17, s46
	ds_read_b64 v[20:21], v17
	s_waitcnt vmcnt(0) lgkmcnt(0)
	v_fmac_f64_e32 v[8:9], v[18:19], v[20:21]
.LBB11_171:                             ;   in Loop: Header=BB11_168 Depth=3
	s_or_b64 exec, exec, s[40:41]
.LBB11_172:                             ;   in Loop: Header=BB11_168 Depth=3
	s_andn2_saveexec_b64 s[38:39], s[38:39]
	s_cbranch_execz .LBB11_174
; %bb.173:                              ;   in Loop: Header=BB11_168 Depth=3
	v_mov_b32_e32 v17, s46
	ds_read_b64 v[18:19], v17
	s_waitcnt lgkmcnt(0)
	v_add_f64 v[8:9], v[8:9], v[18:19]
.LBB11_174:                             ;   in Loop: Header=BB11_168 Depth=3
	s_or_b64 exec, exec, s[38:39]
	v_cmp_ne_u32_e32 vcc, s45, v16
	s_or_b64 s[38:39], s[18:19], vcc
	s_and_saveexec_b64 s[40:41], s[38:39]
	s_xor_b64 s[38:39], exec, s[40:41]
	s_cbranch_execz .LBB11_178
; %bb.175:                              ;   in Loop: Header=BB11_168 Depth=3
	s_add_i32 s47, s37, 0xfffffe01
	v_cmp_le_i32_e32 vcc, s47, v7
	s_and_saveexec_b64 s[40:41], vcc
	s_cbranch_execz .LBB11_177
; %bb.176:                              ;   in Loop: Header=BB11_168 Depth=3
	s_mul_i32 s48, s13, s47
	s_mul_hi_u32 s49, s12, s47
	s_add_i32 s49, s49, s48
	s_mul_i32 s48, s12, s47
	s_ashr_i32 s37, s36, 31
	v_lshl_add_u64 v[18:19], s[48:49], 3, v[12:13]
	v_lshl_add_u64 v[18:19], s[36:37], 3, v[18:19]
	flat_load_dwordx2 v[18:19], v[18:19]
	v_mov_b32_e32 v17, s46
	ds_read_b64 v[20:21], v17 offset:8
	s_waitcnt vmcnt(0) lgkmcnt(0)
	v_fmac_f64_e32 v[8:9], v[18:19], v[20:21]
.LBB11_177:                             ;   in Loop: Header=BB11_168 Depth=3
	s_or_b64 exec, exec, s[40:41]
.LBB11_178:                             ;   in Loop: Header=BB11_168 Depth=3
	s_andn2_saveexec_b64 s[38:39], s[38:39]
	s_cbranch_execz .LBB11_167
; %bb.179:                              ;   in Loop: Header=BB11_168 Depth=3
	v_mov_b32_e32 v17, s46
	ds_read_b64 v[18:19], v17 offset:8
	s_waitcnt lgkmcnt(0)
	v_add_f64 v[8:9], v[8:9], v[18:19]
	s_branch .LBB11_167
.LBB11_180:                             ;   in Loop: Header=BB11_151 Depth=1
	s_or_b64 exec, exec, s[28:29]
.LBB11_181:                             ;   in Loop: Header=BB11_151 Depth=1
	s_and_saveexec_b64 s[20:21], s[0:1]
	s_cbranch_execz .LBB11_150
; %bb.182:                              ;   in Loop: Header=BB11_151 Depth=1
	ds_read_b64 v[6:7], v1
	v_mad_u64_u32 v[8:9], s[0:1], s8, v15, 0
	v_mov_b32_e32 v4, v9
	v_mad_u64_u32 v[10:11], s[0:1], s9, v15, v[4:5]
	v_mov_b32_e32 v9, v10
	v_lshl_add_u64 v[8:9], v[8:9], 3, s[16:17]
	s_waitcnt lgkmcnt(0)
	flat_store_dwordx2 v[8:9], v[6:7]
	s_branch .LBB11_150
.LBB11_183:
	s_endpgm
	.section	.rodata,"a",@progbits
	.p2align	6, 0x0
	.amdhsa_kernel _ZL19rocblas_tbsv_kernelILb0ELi512EPKPKdPKPdEv18rocblas_operation_bbiiT1_lllT2_lll
		.amdhsa_group_segment_fixed_size 16384
		.amdhsa_private_segment_fixed_size 0
		.amdhsa_kernarg_size 80
		.amdhsa_user_sgpr_count 2
		.amdhsa_user_sgpr_dispatch_ptr 0
		.amdhsa_user_sgpr_queue_ptr 0
		.amdhsa_user_sgpr_kernarg_segment_ptr 1
		.amdhsa_user_sgpr_dispatch_id 0
		.amdhsa_user_sgpr_kernarg_preload_length 0
		.amdhsa_user_sgpr_kernarg_preload_offset 0
		.amdhsa_user_sgpr_private_segment_size 0
		.amdhsa_uses_dynamic_stack 0
		.amdhsa_enable_private_segment 0
		.amdhsa_system_sgpr_workgroup_id_x 1
		.amdhsa_system_sgpr_workgroup_id_y 0
		.amdhsa_system_sgpr_workgroup_id_z 0
		.amdhsa_system_sgpr_workgroup_info 0
		.amdhsa_system_vgpr_workitem_id 0
		.amdhsa_next_free_vgpr 24
		.amdhsa_next_free_sgpr 68
		.amdhsa_accum_offset 24
		.amdhsa_reserve_vcc 1
		.amdhsa_float_round_mode_32 0
		.amdhsa_float_round_mode_16_64 0
		.amdhsa_float_denorm_mode_32 3
		.amdhsa_float_denorm_mode_16_64 3
		.amdhsa_dx10_clamp 1
		.amdhsa_ieee_mode 1
		.amdhsa_fp16_overflow 0
		.amdhsa_tg_split 0
		.amdhsa_exception_fp_ieee_invalid_op 0
		.amdhsa_exception_fp_denorm_src 0
		.amdhsa_exception_fp_ieee_div_zero 0
		.amdhsa_exception_fp_ieee_overflow 0
		.amdhsa_exception_fp_ieee_underflow 0
		.amdhsa_exception_fp_ieee_inexact 0
		.amdhsa_exception_int_div_zero 0
	.end_amdhsa_kernel
	.section	.text._ZL19rocblas_tbsv_kernelILb0ELi512EPKPKdPKPdEv18rocblas_operation_bbiiT1_lllT2_lll,"axG",@progbits,_ZL19rocblas_tbsv_kernelILb0ELi512EPKPKdPKPdEv18rocblas_operation_bbiiT1_lllT2_lll,comdat
.Lfunc_end11:
	.size	_ZL19rocblas_tbsv_kernelILb0ELi512EPKPKdPKPdEv18rocblas_operation_bbiiT1_lllT2_lll, .Lfunc_end11-_ZL19rocblas_tbsv_kernelILb0ELi512EPKPKdPKPdEv18rocblas_operation_bbiiT1_lllT2_lll
                                        ; -- End function
	.set _ZL19rocblas_tbsv_kernelILb0ELi512EPKPKdPKPdEv18rocblas_operation_bbiiT1_lllT2_lll.num_vgpr, 24
	.set _ZL19rocblas_tbsv_kernelILb0ELi512EPKPKdPKPdEv18rocblas_operation_bbiiT1_lllT2_lll.num_agpr, 0
	.set _ZL19rocblas_tbsv_kernelILb0ELi512EPKPKdPKPdEv18rocblas_operation_bbiiT1_lllT2_lll.numbered_sgpr, 68
	.set _ZL19rocblas_tbsv_kernelILb0ELi512EPKPKdPKPdEv18rocblas_operation_bbiiT1_lllT2_lll.num_named_barrier, 0
	.set _ZL19rocblas_tbsv_kernelILb0ELi512EPKPKdPKPdEv18rocblas_operation_bbiiT1_lllT2_lll.private_seg_size, 0
	.set _ZL19rocblas_tbsv_kernelILb0ELi512EPKPKdPKPdEv18rocblas_operation_bbiiT1_lllT2_lll.uses_vcc, 1
	.set _ZL19rocblas_tbsv_kernelILb0ELi512EPKPKdPKPdEv18rocblas_operation_bbiiT1_lllT2_lll.uses_flat_scratch, 0
	.set _ZL19rocblas_tbsv_kernelILb0ELi512EPKPKdPKPdEv18rocblas_operation_bbiiT1_lllT2_lll.has_dyn_sized_stack, 0
	.set _ZL19rocblas_tbsv_kernelILb0ELi512EPKPKdPKPdEv18rocblas_operation_bbiiT1_lllT2_lll.has_recursion, 0
	.set _ZL19rocblas_tbsv_kernelILb0ELi512EPKPKdPKPdEv18rocblas_operation_bbiiT1_lllT2_lll.has_indirect_call, 0
	.section	.AMDGPU.csdata,"",@progbits
; Kernel info:
; codeLenInByte = 6244
; TotalNumSgprs: 74
; NumVgprs: 24
; NumAgprs: 0
; TotalNumVgprs: 24
; ScratchSize: 0
; MemoryBound: 0
; FloatMode: 240
; IeeeMode: 1
; LDSByteSize: 16384 bytes/workgroup (compile time only)
; SGPRBlocks: 9
; VGPRBlocks: 2
; NumSGPRsForWavesPerEU: 74
; NumVGPRsForWavesPerEU: 24
; AccumOffset: 24
; Occupancy: 8
; WaveLimiterHint : 1
; COMPUTE_PGM_RSRC2:SCRATCH_EN: 0
; COMPUTE_PGM_RSRC2:USER_SGPR: 2
; COMPUTE_PGM_RSRC2:TRAP_HANDLER: 0
; COMPUTE_PGM_RSRC2:TGID_X_EN: 1
; COMPUTE_PGM_RSRC2:TGID_Y_EN: 0
; COMPUTE_PGM_RSRC2:TGID_Z_EN: 0
; COMPUTE_PGM_RSRC2:TIDIG_COMP_CNT: 0
; COMPUTE_PGM_RSRC3_GFX90A:ACCUM_OFFSET: 5
; COMPUTE_PGM_RSRC3_GFX90A:TG_SPLIT: 0
	.section	.text._ZL19rocblas_tbsv_kernelILb1ELi512EPKPK19rocblas_complex_numIfEPKPS1_Ev18rocblas_operation_bbiiT1_lllT2_lll,"axG",@progbits,_ZL19rocblas_tbsv_kernelILb1ELi512EPKPK19rocblas_complex_numIfEPKPS1_Ev18rocblas_operation_bbiiT1_lllT2_lll,comdat
	.globl	_ZL19rocblas_tbsv_kernelILb1ELi512EPKPK19rocblas_complex_numIfEPKPS1_Ev18rocblas_operation_bbiiT1_lllT2_lll ; -- Begin function _ZL19rocblas_tbsv_kernelILb1ELi512EPKPK19rocblas_complex_numIfEPKPS1_Ev18rocblas_operation_bbiiT1_lllT2_lll
	.p2align	8
	.type	_ZL19rocblas_tbsv_kernelILb1ELi512EPKPK19rocblas_complex_numIfEPKPS1_Ev18rocblas_operation_bbiiT1_lllT2_lll,@function
_ZL19rocblas_tbsv_kernelILb1ELi512EPKPK19rocblas_complex_numIfEPKPS1_Ev18rocblas_operation_bbiiT1_lllT2_lll: ; @_ZL19rocblas_tbsv_kernelILb1ELi512EPKPK19rocblas_complex_numIfEPKPS1_Ev18rocblas_operation_bbiiT1_lllT2_lll
; %bb.0:
	s_load_dwordx2 s[34:35], s[0:1], 0x0
	s_load_dwordx4 s[4:7], s[0:1], 0x4
	s_load_dwordx4 s[8:11], s[0:1], 0x10
	s_load_dwordx2 s[12:13], s[0:1], 0x20
	s_mov_b32 s3, 0
	s_waitcnt lgkmcnt(0)
	s_bitcmp1_b32 s35, 0
	s_cselect_b64 s[14:15], -1, 0
	s_xor_b64 s[26:27], s[14:15], -1
	s_bitcmp1_b32 s4, 8
	s_cselect_b64 s[18:19], -1, 0
	s_lshl_b64 s[2:3], s[2:3], 3
	s_add_u32 s14, s8, s2
	s_addc_u32 s15, s9, s3
	s_load_dwordx2 s[20:21], s[14:15], 0x0
	s_load_dwordx4 s[28:31], s[0:1], 0x30
	s_load_dwordx2 s[8:9], s[0:1], 0x40
	s_lshl_b64 s[22:23], s[10:11], 3
	s_waitcnt lgkmcnt(0)
	s_add_u32 s14, s20, s22
	s_addc_u32 s15, s21, s23
	s_add_u32 s0, s28, s2
	s_addc_u32 s1, s29, s3
	s_load_dwordx2 s[0:1], s[0:1], 0x0
	s_lshl_b64 s[2:3], s[30:31], 3
	s_waitcnt lgkmcnt(0)
	s_add_u32 s16, s0, s2
	s_addc_u32 s17, s1, s3
	s_cmp_gt_i32 s5, 0
	s_cselect_b64 s[24:25], -1, 0
	s_cmpk_lg_i32 s34, 0x6f
	s_mov_b64 s[0:1], -1
	s_cbranch_scc0 .LBB12_107
; %bb.1:
	s_and_b64 vcc, exec, s[26:27]
	s_cbranch_vccz .LBB12_54
; %bb.2:
	s_andn2_b64 vcc, exec, s[24:25]
	s_cbranch_vccnz .LBB12_53
; %bb.3:
	s_ashr_i32 s1, s5, 31
	s_mov_b32 s0, s5
	s_add_i32 s42, s5, 0xfffffe00
	s_add_i32 s4, s5, -1
	s_lshl_b64 s[0:1], s[0:1], 3
	s_add_u32 s0, s22, s0
	s_addc_u32 s1, s23, s1
	s_add_u32 s0, s20, s0
	s_addc_u32 s1, s21, s1
	v_mov_b32_e32 v1, 0x3000
	s_add_u32 s28, s0, 0xfffff000
	v_add_u32_e32 v2, s5, v0
	v_lshl_or_b32 v1, v0, 3, v1
	v_sub_u32_e32 v12, 0, v0
	s_addc_u32 s29, s1, -1
	v_add_u32_e32 v13, 0xfffffc00, v2
	s_lshl_b64 s[30:31], s[12:13], 3
	s_xor_b64 s[34:35], s[18:19], -1
	v_mov_b32_e32 v3, 0
	s_mov_b64 s[36:37], 0x1000
	s_mov_b32 s7, s5
	s_branch .LBB12_5
.LBB12_4:                               ;   in Loop: Header=BB12_5 Depth=1
	s_or_b64 exec, exec, s[38:39]
	s_addk_i32 s4, 0xfe00
	s_addk_i32 s7, 0xfe00
	s_add_u32 s28, s28, 0xfffff000
	s_addc_u32 s29, s29, -1
	v_add_u32_e32 v13, 0xfffffe00, v13
	s_andn2_b64 vcc, exec, s[2:3]
	s_mov_b32 s42, s33
	s_waitcnt lgkmcnt(0)
	s_barrier
	s_cbranch_vccz .LBB12_53
.LBB12_5:                               ; =>This Loop Header: Depth=1
                                        ;     Child Loop BB12_10 Depth 2
                                        ;     Child Loop BB12_23 Depth 2
                                        ;       Child Loop BB12_26 Depth 3
	v_add_u32_e32 v14, s42, v0
	v_cmp_gt_i32_e32 vcc, 0, v14
	v_cmp_lt_i32_e64 s[0:1], -1, v14
	s_and_saveexec_b64 s[2:3], s[0:1]
	s_cbranch_execz .LBB12_7
; %bb.6:                                ;   in Loop: Header=BB12_5 Depth=1
	v_mad_u64_u32 v[4:5], s[38:39], s8, v14, 0
	v_mov_b32_e32 v2, v5
	v_mad_u64_u32 v[6:7], s[38:39], s9, v14, v[2:3]
	v_mov_b32_e32 v5, v6
	v_lshl_add_u64 v[4:5], v[4:5], 3, s[16:17]
	flat_load_dwordx2 v[4:5], v[4:5]
	s_waitcnt vmcnt(0) lgkmcnt(0)
	ds_write_b64 v1, v[4:5]
.LBB12_7:                               ;   in Loop: Header=BB12_5 Depth=1
	s_or_b64 exec, exec, s[2:3]
	v_ashrrev_i32_e32 v2, 31, v14
	v_mul_lo_u32 v6, s13, v14
	v_mul_lo_u32 v2, s12, v2
	v_mad_u64_u32 v[4:5], s[2:3], s12, v14, 0
	v_add3_u32 v5, v5, v2, v6
	v_add_u32_e32 v15, s6, v14
	v_lshl_add_u64 v[4:5], v[4:5], 3, s[14:15]
	s_movk_i32 s33, 0x1ff
	s_movk_i32 s43, 0x3ff8
	s_xor_b64 s[38:39], vcc, -1
	s_waitcnt lgkmcnt(0)
	s_barrier
	s_branch .LBB12_10
.LBB12_8:                               ;   in Loop: Header=BB12_10 Depth=2
	s_or_b64 exec, exec, s[2:3]
	s_add_i32 s33, s33, -1
	s_add_i32 s43, s43, -8
	s_cmp_eq_u32 s33, -1
	s_cselect_b64 s[2:3], -1, 0
.LBB12_9:                               ;   in Loop: Header=BB12_10 Depth=2
	s_and_b64 vcc, exec, s[2:3]
	s_cbranch_vccnz .LBB12_19
.LBB12_10:                              ;   Parent Loop BB12_5 Depth=1
                                        ; =>  This Inner Loop Header: Depth=2
	s_add_i32 s44, s4, s33
	s_addk_i32 s44, 0xfe01
	s_cmp_lt_i32 s44, 0
	s_mov_b64 s[2:3], -1
	s_cbranch_scc1 .LBB12_9
; %bb.11:                               ;   in Loop: Header=BB12_10 Depth=2
	v_add_u32_e32 v2, s33, v12
	v_cmp_eq_u32_e32 vcc, 0, v2
	s_and_b64 s[40:41], s[34:35], vcc
	s_and_saveexec_b64 s[2:3], s[40:41]
	s_cbranch_execz .LBB12_17
; %bb.12:                               ;   in Loop: Header=BB12_10 Depth=2
	s_mul_i32 s40, s13, s44
	s_mul_hi_u32 s41, s12, s44
	s_add_i32 s41, s41, s40
	s_mul_i32 s40, s12, s44
	s_lshl_b64 s[40:41], s[40:41], 3
	s_add_u32 s40, s14, s40
	s_addc_u32 s41, s15, s41
	v_mov_b64_e32 v[6:7], s[40:41]
	flat_load_dwordx2 v[8:9], v[6:7]
	ds_read_b64 v[6:7], v1
                                        ; implicit-def: $vgpr10_vgpr11
	s_waitcnt vmcnt(0) lgkmcnt(0)
	v_cmp_ngt_f32_e64 s[40:41], |v8|, |v9|
	s_and_saveexec_b64 s[46:47], s[40:41]
	s_xor_b64 s[40:41], exec, s[46:47]
	s_cbranch_execz .LBB12_14
; %bb.13:                               ;   in Loop: Header=BB12_10 Depth=2
	v_div_scale_f32 v10, s[46:47], -v9, -v9, v8
	v_rcp_f32_e32 v11, v10
	v_div_scale_f32 v16, vcc, v8, -v9, v8
	v_fma_f32 v17, -v10, v11, 1.0
	v_fmac_f32_e32 v11, v17, v11
	v_mul_f32_e32 v17, v16, v11
	v_fma_f32 v18, -v10, v17, v16
	v_fmac_f32_e32 v17, v18, v11
	v_fma_f32 v10, -v10, v17, v16
	v_div_fmas_f32 v10, v10, v11, v17
	v_div_fixup_f32 v10, v10, -v9, v8
	v_fma_f32 v8, v8, v10, -v9
	v_div_scale_f32 v9, s[46:47], v8, v8, 1.0
	v_rcp_f32_e32 v11, v9
	s_nop 0
	v_fma_f32 v16, -v9, v11, 1.0
	v_fmac_f32_e32 v11, v16, v11
	v_div_scale_f32 v16, vcc, 1.0, v8, 1.0
	v_mul_f32_e32 v17, v16, v11
	v_fma_f32 v18, -v9, v17, v16
	v_fmac_f32_e32 v17, v18, v11
	v_fma_f32 v9, -v9, v17, v16
	v_div_fmas_f32 v9, v9, v11, v17
	v_pk_fma_f32 v[16:17], v[10:11], v[6:7], v[6:7] op_sel:[0,0,1] op_sel_hi:[1,1,0]
	v_pk_fma_f32 v[6:7], v[10:11], v[6:7], v[6:7] op_sel:[0,0,1] op_sel_hi:[0,1,0] neg_lo:[0,0,1] neg_hi:[0,0,1]
	v_div_fixup_f32 v8, v9, v8, 1.0
	v_mov_b32_e32 v17, v7
	v_pk_mul_f32 v[10:11], v[8:9], v[16:17] op_sel_hi:[0,1]
                                        ; implicit-def: $vgpr8_vgpr9
                                        ; implicit-def: $vgpr6_vgpr7
.LBB12_14:                              ;   in Loop: Header=BB12_10 Depth=2
	s_andn2_saveexec_b64 s[40:41], s[40:41]
	s_cbranch_execz .LBB12_16
; %bb.15:                               ;   in Loop: Header=BB12_10 Depth=2
	v_div_scale_f32 v10, s[46:47], v8, v8, -v9
	v_rcp_f32_e32 v11, v10
	v_div_scale_f32 v16, vcc, -v9, v8, -v9
	v_fma_f32 v17, -v10, v11, 1.0
	v_fmac_f32_e32 v11, v17, v11
	v_mul_f32_e32 v17, v16, v11
	v_fma_f32 v18, -v10, v17, v16
	v_fmac_f32_e32 v17, v18, v11
	v_fma_f32 v10, -v10, v17, v16
	v_div_fmas_f32 v10, v10, v11, v17
	v_div_fixup_f32 v10, v10, v8, -v9
	v_fma_f32 v8, -v9, v10, v8
	v_div_scale_f32 v9, s[46:47], v8, v8, 1.0
	v_rcp_f32_e32 v11, v9
	s_nop 0
	v_fma_f32 v16, -v9, v11, 1.0
	v_fmac_f32_e32 v11, v16, v11
	v_div_scale_f32 v16, vcc, 1.0, v8, 1.0
	v_mul_f32_e32 v17, v16, v11
	v_fma_f32 v18, -v9, v17, v16
	v_fmac_f32_e32 v17, v18, v11
	v_fma_f32 v9, -v9, v17, v16
	v_div_fmas_f32 v9, v9, v11, v17
	v_pk_fma_f32 v[16:17], v[10:11], v[6:7], v[6:7] op_sel:[0,1,0] op_sel_hi:[1,0,1]
	v_pk_fma_f32 v[6:7], v[10:11], v[6:7], v[6:7] op_sel:[0,1,0] op_sel_hi:[0,0,1] neg_lo:[1,0,0] neg_hi:[1,0,0]
	v_div_fixup_f32 v8, v9, v8, 1.0
	v_mov_b32_e32 v17, v7
	v_pk_mul_f32 v[10:11], v[8:9], v[16:17] op_sel_hi:[0,1]
.LBB12_16:                              ;   in Loop: Header=BB12_10 Depth=2
	s_or_b64 exec, exec, s[40:41]
	ds_write_b64 v1, v[10:11]
.LBB12_17:                              ;   in Loop: Header=BB12_10 Depth=2
	s_or_b64 exec, exec, s[2:3]
	v_cmp_gt_u32_e32 vcc, s33, v0
	v_cmp_le_i32_e64 s[2:3], s44, v15
	s_and_b64 s[40:41], s[38:39], vcc
	s_and_b64 s[40:41], s[40:41], s[2:3]
	s_waitcnt lgkmcnt(0)
	s_barrier
	s_and_saveexec_b64 s[2:3], s[40:41]
	s_cbranch_execz .LBB12_8
; %bb.18:                               ;   in Loop: Header=BB12_10 Depth=2
	v_lshl_add_u64 v[6:7], v[2:3], 3, v[4:5]
	flat_load_dwordx2 v[6:7], v[6:7]
	v_mov_b32_e32 v2, s43
	ds_read_b64 v[8:9], v2
	ds_read_b64 v[10:11], v1
	s_waitcnt vmcnt(0) lgkmcnt(0)
	v_pk_mul_f32 v[16:17], v[6:7], v[8:9] op_sel:[1,1] op_sel_hi:[1,0]
	s_nop 0
	v_pk_fma_f32 v[18:19], v[6:7], v[8:9], v[16:17]
	v_pk_fma_f32 v[6:7], v[6:7], v[8:9], v[16:17] op_sel_hi:[0,1,1] neg_lo:[0,0,1] neg_hi:[0,0,1]
	v_mov_b32_e32 v19, v7
	v_pk_add_f32 v[6:7], v[10:11], v[18:19] neg_lo:[0,1] neg_hi:[0,1]
	ds_write_b64 v1, v[6:7]
	s_branch .LBB12_8
.LBB12_19:                              ;   in Loop: Header=BB12_5 Depth=1
	s_add_i32 s33, s42, 0xfffffe00
	s_cmp_lt_i32 s42, 1
	s_cselect_b64 s[2:3], -1, 0
	s_and_b64 vcc, exec, s[2:3]
	s_waitcnt lgkmcnt(0)
	s_barrier
	s_cbranch_vccnz .LBB12_51
; %bb.20:                               ;   in Loop: Header=BB12_5 Depth=1
	v_mad_i64_i32 v[4:5], s[38:39], v13, -8, s[28:29]
	s_mov_b64 s[38:39], 0
	v_mov_b32_e32 v10, v13
	v_mov_b32_e32 v11, v0
	s_mov_b32 s48, s33
                                        ; implicit-def: $sgpr40_sgpr41
	s_branch .LBB12_23
.LBB12_21:                              ;   in Loop: Header=BB12_23 Depth=2
	v_mad_u64_u32 v[8:9], s[44:45], s8, v15, 0
	v_mov_b32_e32 v2, v9
	v_mad_u64_u32 v[16:17], s[44:45], s9, v15, v[2:3]
	v_mov_b32_e32 v9, v16
	v_lshl_add_u64 v[8:9], v[8:9], 3, s[16:17]
	flat_load_dwordx2 v[16:17], v[8:9]
	s_add_i32 s46, s48, 0xfffffe00
	s_cmp_lt_i32 s48, 1
	s_cselect_b64 s[44:45], -1, 0
	s_andn2_b64 s[40:41], s[40:41], exec
	s_and_b64 s[44:45], s[44:45], exec
	v_lshl_add_u64 v[4:5], v[4:5], 0, s[36:37]
	v_add_u32_e32 v10, 0xfffffe00, v10
	s_or_b64 s[40:41], s[40:41], s[44:45]
	s_mov_b32 s48, s46
	s_waitcnt vmcnt(0) lgkmcnt(0)
	v_pk_add_f32 v[6:7], v[16:17], v[6:7] neg_lo:[0,1] neg_hi:[0,1]
	flat_store_dwordx2 v[8:9], v[6:7]
.LBB12_22:                              ;   in Loop: Header=BB12_23 Depth=2
	s_or_b64 exec, exec, s[42:43]
	s_and_b64 s[42:43], exec, s[40:41]
	s_or_b64 s[38:39], s[42:43], s[38:39]
	s_andn2_b64 exec, exec, s[38:39]
	s_cbranch_execz .LBB12_50
.LBB12_23:                              ;   Parent Loop BB12_5 Depth=1
                                        ; =>  This Loop Header: Depth=2
                                        ;       Child Loop BB12_26 Depth 3
	v_add_u32_e32 v15, s48, v0
	v_cmp_lt_i32_e32 vcc, -1, v15
	s_or_b64 s[40:41], s[40:41], exec
	s_and_saveexec_b64 s[42:43], vcc
	s_cbranch_execz .LBB12_22
; %bb.24:                               ;   in Loop: Header=BB12_23 Depth=2
	v_mad_u64_u32 v[8:9], s[44:45], s30, v10, v[4:5]
	v_mov_b32_e32 v2, v9
	v_mad_u64_u32 v[6:7], s[44:45], s31, v10, v[2:3]
	v_mov_b32_e32 v2, v3
	v_mov_b32_e32 v9, v6
	v_add_u32_e32 v16, s6, v15
	v_add_u32_e32 v17, 0xfffffdfd, v11
	;; [unrolled: 1-line block ×5, first 2 shown]
	s_mov_b32 s49, 0
	s_movk_i32 s50, 0x3000
	v_mov_b64_e32 v[6:7], v[2:3]
	s_branch .LBB12_26
.LBB12_25:                              ;   in Loop: Header=BB12_26 Depth=3
	s_or_b64 exec, exec, s[44:45]
	s_add_i32 s49, s49, 4
	s_add_i32 s50, s50, 32
	s_cmpk_eq_i32 s49, 0x200
	v_lshl_add_u64 v[8:9], v[8:9], 0, 32
	s_cbranch_scc1 .LBB12_21
.LBB12_26:                              ;   Parent Loop BB12_5 Depth=1
                                        ;     Parent Loop BB12_23 Depth=2
                                        ; =>    This Inner Loop Header: Depth=3
	v_cmp_ne_u32_e32 vcc, s49, v11
	s_add_i32 s51, s7, s49
	s_or_b64 s[44:45], s[34:35], vcc
	s_and_saveexec_b64 s[46:47], s[44:45]
	s_xor_b64 s[44:45], exec, s[46:47]
	s_cbranch_execz .LBB12_30
; %bb.27:                               ;   in Loop: Header=BB12_26 Depth=3
	s_add_i32 s46, s51, 0xfffffe00
	v_cmp_le_i32_e32 vcc, s46, v16
	s_and_saveexec_b64 s[46:47], vcc
	s_cbranch_execz .LBB12_29
; %bb.28:                               ;   in Loop: Header=BB12_26 Depth=3
	flat_load_dwordx2 v[20:21], v[8:9]
	v_mov_b32_e32 v2, s50
	ds_read_b64 v[22:23], v2
	s_waitcnt vmcnt(0) lgkmcnt(0)
	v_pk_mul_f32 v[24:25], v[20:21], v[22:23] op_sel:[1,1] op_sel_hi:[1,0]
	s_nop 0
	v_pk_fma_f32 v[26:27], v[20:21], v[22:23], v[24:25]
	v_pk_fma_f32 v[20:21], v[20:21], v[22:23], v[24:25] op_sel_hi:[0,1,1] neg_lo:[0,0,1] neg_hi:[0,0,1]
	v_mov_b32_e32 v27, v21
	v_pk_add_f32 v[6:7], v[6:7], v[26:27]
.LBB12_29:                              ;   in Loop: Header=BB12_26 Depth=3
	s_or_b64 exec, exec, s[46:47]
.LBB12_30:                              ;   in Loop: Header=BB12_26 Depth=3
	s_andn2_saveexec_b64 s[44:45], s[44:45]
	s_cbranch_execz .LBB12_32
; %bb.31:                               ;   in Loop: Header=BB12_26 Depth=3
	v_mov_b32_e32 v2, s50
	ds_read_b64 v[20:21], v2
	s_waitcnt lgkmcnt(0)
	v_pk_add_f32 v[6:7], v[6:7], v[20:21]
.LBB12_32:                              ;   in Loop: Header=BB12_26 Depth=3
	s_or_b64 exec, exec, s[44:45]
	v_cmp_ne_u32_e32 vcc, s49, v19
	s_or_b64 s[44:45], s[34:35], vcc
	s_and_saveexec_b64 s[46:47], s[44:45]
	s_xor_b64 s[44:45], exec, s[46:47]
	s_cbranch_execz .LBB12_36
; %bb.33:                               ;   in Loop: Header=BB12_26 Depth=3
	s_add_i32 s46, s51, 0xfffffe01
	v_cmp_le_i32_e32 vcc, s46, v16
	s_and_saveexec_b64 s[46:47], vcc
	s_cbranch_execz .LBB12_35
; %bb.34:                               ;   in Loop: Header=BB12_26 Depth=3
	flat_load_dwordx2 v[20:21], v[8:9] offset:8
	v_mov_b32_e32 v2, s50
	ds_read_b64 v[22:23], v2 offset:8
	s_waitcnt vmcnt(0) lgkmcnt(0)
	v_pk_mul_f32 v[24:25], v[20:21], v[22:23] op_sel:[1,1] op_sel_hi:[1,0]
	s_nop 0
	v_pk_fma_f32 v[26:27], v[20:21], v[22:23], v[24:25]
	v_pk_fma_f32 v[20:21], v[20:21], v[22:23], v[24:25] op_sel_hi:[0,1,1] neg_lo:[0,0,1] neg_hi:[0,0,1]
	v_mov_b32_e32 v27, v21
	v_pk_add_f32 v[6:7], v[6:7], v[26:27]
.LBB12_35:                              ;   in Loop: Header=BB12_26 Depth=3
	s_or_b64 exec, exec, s[46:47]
.LBB12_36:                              ;   in Loop: Header=BB12_26 Depth=3
	s_andn2_saveexec_b64 s[44:45], s[44:45]
	s_cbranch_execz .LBB12_38
; %bb.37:                               ;   in Loop: Header=BB12_26 Depth=3
	v_mov_b32_e32 v2, s50
	ds_read_b64 v[20:21], v2 offset:8
	s_waitcnt lgkmcnt(0)
	v_pk_add_f32 v[6:7], v[6:7], v[20:21]
.LBB12_38:                              ;   in Loop: Header=BB12_26 Depth=3
	s_or_b64 exec, exec, s[44:45]
	v_cmp_ne_u32_e32 vcc, s49, v18
	s_or_b64 s[44:45], s[34:35], vcc
	s_and_saveexec_b64 s[46:47], s[44:45]
	s_xor_b64 s[44:45], exec, s[46:47]
	s_cbranch_execz .LBB12_42
; %bb.39:                               ;   in Loop: Header=BB12_26 Depth=3
	s_add_i32 s46, s51, 0xfffffe02
	v_cmp_le_i32_e32 vcc, s46, v16
	s_and_saveexec_b64 s[46:47], vcc
	s_cbranch_execz .LBB12_41
; %bb.40:                               ;   in Loop: Header=BB12_26 Depth=3
	flat_load_dwordx2 v[20:21], v[8:9] offset:16
	v_mov_b32_e32 v2, s50
	ds_read_b64 v[22:23], v2 offset:16
	s_waitcnt vmcnt(0) lgkmcnt(0)
	v_pk_mul_f32 v[24:25], v[20:21], v[22:23] op_sel:[1,1] op_sel_hi:[1,0]
	s_nop 0
	v_pk_fma_f32 v[26:27], v[20:21], v[22:23], v[24:25]
	v_pk_fma_f32 v[20:21], v[20:21], v[22:23], v[24:25] op_sel_hi:[0,1,1] neg_lo:[0,0,1] neg_hi:[0,0,1]
	v_mov_b32_e32 v27, v21
	v_pk_add_f32 v[6:7], v[6:7], v[26:27]
.LBB12_41:                              ;   in Loop: Header=BB12_26 Depth=3
	s_or_b64 exec, exec, s[46:47]
.LBB12_42:                              ;   in Loop: Header=BB12_26 Depth=3
	s_andn2_saveexec_b64 s[44:45], s[44:45]
	s_cbranch_execz .LBB12_44
; %bb.43:                               ;   in Loop: Header=BB12_26 Depth=3
	v_mov_b32_e32 v2, s50
	ds_read_b64 v[20:21], v2 offset:16
	s_waitcnt lgkmcnt(0)
	v_pk_add_f32 v[6:7], v[6:7], v[20:21]
.LBB12_44:                              ;   in Loop: Header=BB12_26 Depth=3
	s_or_b64 exec, exec, s[44:45]
	v_cmp_ne_u32_e32 vcc, s49, v17
	s_or_b64 s[44:45], s[34:35], vcc
	s_and_saveexec_b64 s[46:47], s[44:45]
	s_xor_b64 s[44:45], exec, s[46:47]
	s_cbranch_execz .LBB12_48
; %bb.45:                               ;   in Loop: Header=BB12_26 Depth=3
	s_addk_i32 s51, 0xfe03
	v_cmp_le_i32_e32 vcc, s51, v16
	s_and_saveexec_b64 s[46:47], vcc
	s_cbranch_execz .LBB12_47
; %bb.46:                               ;   in Loop: Header=BB12_26 Depth=3
	flat_load_dwordx2 v[20:21], v[8:9] offset:24
	v_mov_b32_e32 v2, s50
	ds_read_b64 v[22:23], v2 offset:24
	s_waitcnt vmcnt(0) lgkmcnt(0)
	v_pk_mul_f32 v[24:25], v[20:21], v[22:23] op_sel:[1,1] op_sel_hi:[1,0]
	s_nop 0
	v_pk_fma_f32 v[26:27], v[20:21], v[22:23], v[24:25]
	v_pk_fma_f32 v[20:21], v[20:21], v[22:23], v[24:25] op_sel_hi:[0,1,1] neg_lo:[0,0,1] neg_hi:[0,0,1]
	v_mov_b32_e32 v27, v21
	v_pk_add_f32 v[6:7], v[6:7], v[26:27]
.LBB12_47:                              ;   in Loop: Header=BB12_26 Depth=3
	s_or_b64 exec, exec, s[46:47]
.LBB12_48:                              ;   in Loop: Header=BB12_26 Depth=3
	s_andn2_saveexec_b64 s[44:45], s[44:45]
	s_cbranch_execz .LBB12_25
; %bb.49:                               ;   in Loop: Header=BB12_26 Depth=3
	v_mov_b32_e32 v2, s50
	ds_read_b64 v[20:21], v2 offset:24
	s_waitcnt lgkmcnt(0)
	v_pk_add_f32 v[6:7], v[6:7], v[20:21]
	s_branch .LBB12_25
.LBB12_50:                              ;   in Loop: Header=BB12_5 Depth=1
	s_or_b64 exec, exec, s[38:39]
.LBB12_51:                              ;   in Loop: Header=BB12_5 Depth=1
	s_and_saveexec_b64 s[38:39], s[0:1]
	s_cbranch_execz .LBB12_4
; %bb.52:                               ;   in Loop: Header=BB12_5 Depth=1
	v_mad_u64_u32 v[4:5], s[0:1], s8, v14, 0
	ds_read_b64 v[6:7], v1
	v_mov_b32_e32 v2, v5
	v_mad_u64_u32 v[8:9], s[0:1], s9, v14, v[2:3]
	v_mov_b32_e32 v5, v8
	v_lshl_add_u64 v[4:5], v[4:5], 3, s[16:17]
	s_waitcnt lgkmcnt(0)
	flat_store_dwordx2 v[4:5], v[6:7]
	s_branch .LBB12_4
.LBB12_53:
	s_mov_b64 s[0:1], 0
.LBB12_54:
	s_andn2_b64 vcc, exec, s[0:1]
	s_cbranch_vccnz .LBB12_106
; %bb.55:
	s_andn2_b64 vcc, exec, s[24:25]
	s_cbranch_vccnz .LBB12_106
; %bb.56:
	s_ashr_i32 s7, s6, 31
	s_lshl_b64 s[28:29], s[12:13], 3
	s_add_u32 s4, s28, -8
	s_addc_u32 s33, s29, -1
	s_lshl_b64 s[0:1], s[6:7], 3
	s_add_u32 s2, s20, s0
	s_addc_u32 s3, s21, s1
	s_add_u32 s2, s2, s22
	s_addc_u32 s3, s3, s23
	v_mov_b64_e32 v[2:3], s[2:3]
	v_mad_u64_u32 v[2:3], s[30:31], s4, v0, v[2:3]
	v_mov_b32_e32 v4, v3
	v_mad_u64_u32 v[4:5], s[30:31], s33, v0, v[4:5]
	s_lshl_b64 s[30:31], s[12:13], 12
	s_add_u32 s0, s22, s0
	s_addc_u32 s1, s23, s1
	s_add_u32 s34, s20, s0
	v_or_b32_e32 v18, 0x200, v0
	v_mov_b32_e32 v3, v4
	s_addc_u32 s35, s21, s1
	v_mad_u64_u32 v[4:5], s[0:1], s12, v18, 0
	v_mov_b32_e32 v6, v5
	s_add_u32 s36, s30, 0x1000
	v_mad_u64_u32 v[6:7], s[0:1], s13, v18, v[6:7]
	s_addc_u32 s37, s31, 0
	v_mov_b32_e32 v1, 0x1000
	v_mov_b32_e32 v5, v6
	s_add_u32 s38, s30, 0xfffff000
	v_lshl_or_b32 v1, v0, 3, v1
	v_lshl_add_u64 v[4:5], v[4:5], 3, s[2:3]
	s_addc_u32 s39, s31, -1
	s_mov_b32 s4, 0
	s_xor_b64 s[40:41], s[18:19], -1
	v_mov_b32_e32 v6, 0
	s_branch .LBB12_58
.LBB12_57:                              ;   in Loop: Header=BB12_58 Depth=1
	s_or_b64 exec, exec, s[42:43]
	s_add_u32 s34, s34, s30
	v_lshl_add_u64 v[2:3], v[2:3], 0, s[30:31]
	s_addc_u32 s35, s35, s31
	v_lshl_add_u64 v[4:5], v[4:5], 0, s[36:37]
	v_add_u32_e32 v18, 0x200, v18
	s_and_b64 vcc, exec, s[2:3]
	s_mov_b32 s4, s7
	s_waitcnt lgkmcnt(0)
	s_barrier
	s_cbranch_vccnz .LBB12_106
.LBB12_58:                              ; =>This Loop Header: Depth=1
                                        ;     Child Loop BB12_63 Depth 2
                                        ;     Child Loop BB12_76 Depth 2
                                        ;       Child Loop BB12_79 Depth 3
	v_add_u32_e32 v19, s4, v0
	v_cmp_le_i32_e32 vcc, s5, v19
	v_cmp_gt_i32_e64 s[0:1], s5, v19
	s_and_saveexec_b64 s[2:3], s[0:1]
	s_cbranch_execz .LBB12_60
; %bb.59:                               ;   in Loop: Header=BB12_58 Depth=1
	v_mad_u64_u32 v[8:9], s[42:43], s8, v19, 0
	v_mov_b32_e32 v10, v9
	v_mad_u64_u32 v[10:11], s[42:43], s9, v19, v[10:11]
	v_mov_b32_e32 v9, v10
	v_lshl_add_u64 v[8:9], v[8:9], 3, s[16:17]
	flat_load_dwordx2 v[8:9], v[8:9]
	s_waitcnt vmcnt(0) lgkmcnt(0)
	ds_write_b64 v1, v[8:9]
.LBB12_60:                              ;   in Loop: Header=BB12_58 Depth=1
	s_or_b64 exec, exec, s[2:3]
	v_subrev_u32_e32 v7, s6, v19
	s_mov_b32 s7, 0
	s_movk_i32 s33, 0x1000
	v_mov_b64_e32 v[8:9], s[34:35]
	s_xor_b64 s[42:43], vcc, -1
	v_mov_b64_e32 v[10:11], v[2:3]
	s_waitcnt lgkmcnt(0)
	s_barrier
	s_branch .LBB12_63
.LBB12_61:                              ;   in Loop: Header=BB12_63 Depth=2
	s_or_b64 exec, exec, s[2:3]
	s_add_i32 s7, s7, 1
	s_add_i32 s33, s33, 8
	s_cmpk_eq_i32 s7, 0x200
	v_lshl_add_u64 v[10:11], v[10:11], 0, 8
	v_lshl_add_u64 v[8:9], v[8:9], 0, s[28:29]
	s_cselect_b64 s[2:3], -1, 0
.LBB12_62:                              ;   in Loop: Header=BB12_63 Depth=2
	s_and_b64 vcc, exec, s[2:3]
	s_cbranch_vccnz .LBB12_72
.LBB12_63:                              ;   Parent Loop BB12_58 Depth=1
                                        ; =>  This Inner Loop Header: Depth=2
	s_add_i32 s46, s4, s7
	s_cmp_ge_i32 s46, s5
	s_mov_b64 s[2:3], -1
	s_cbranch_scc1 .LBB12_62
; %bb.64:                               ;   in Loop: Header=BB12_63 Depth=2
	v_cmp_eq_u32_e32 vcc, s7, v0
	s_and_b64 s[44:45], s[40:41], vcc
	s_and_saveexec_b64 s[2:3], s[44:45]
	s_cbranch_execz .LBB12_70
; %bb.65:                               ;   in Loop: Header=BB12_63 Depth=2
	flat_load_dwordx2 v[14:15], v[8:9]
	ds_read_b64 v[12:13], v1
                                        ; implicit-def: $vgpr16_vgpr17
	s_waitcnt vmcnt(0) lgkmcnt(0)
	v_cmp_ngt_f32_e64 s[44:45], |v14|, |v15|
	s_and_saveexec_b64 s[48:49], s[44:45]
	s_xor_b64 s[44:45], exec, s[48:49]
	s_cbranch_execz .LBB12_67
; %bb.66:                               ;   in Loop: Header=BB12_63 Depth=2
	v_div_scale_f32 v16, s[48:49], -v15, -v15, v14
	v_rcp_f32_e32 v17, v16
	v_div_scale_f32 v20, vcc, v14, -v15, v14
	v_fma_f32 v21, -v16, v17, 1.0
	v_fmac_f32_e32 v17, v21, v17
	v_mul_f32_e32 v21, v20, v17
	v_fma_f32 v22, -v16, v21, v20
	v_fmac_f32_e32 v21, v22, v17
	v_fma_f32 v16, -v16, v21, v20
	v_div_fmas_f32 v16, v16, v17, v21
	v_div_fixup_f32 v16, v16, -v15, v14
	v_fma_f32 v14, v14, v16, -v15
	v_div_scale_f32 v15, s[48:49], v14, v14, 1.0
	v_rcp_f32_e32 v17, v15
	s_nop 0
	v_fma_f32 v20, -v15, v17, 1.0
	v_fmac_f32_e32 v17, v20, v17
	v_div_scale_f32 v20, vcc, 1.0, v14, 1.0
	v_mul_f32_e32 v21, v20, v17
	v_fma_f32 v22, -v15, v21, v20
	v_fmac_f32_e32 v21, v22, v17
	v_fma_f32 v15, -v15, v21, v20
	v_div_fmas_f32 v15, v15, v17, v21
	v_pk_fma_f32 v[20:21], v[16:17], v[12:13], v[12:13] op_sel:[0,0,1] op_sel_hi:[1,1,0]
	v_pk_fma_f32 v[12:13], v[16:17], v[12:13], v[12:13] op_sel:[0,0,1] op_sel_hi:[0,1,0] neg_lo:[0,0,1] neg_hi:[0,0,1]
	v_div_fixup_f32 v14, v15, v14, 1.0
	v_mov_b32_e32 v21, v13
	v_pk_mul_f32 v[16:17], v[14:15], v[20:21] op_sel_hi:[0,1]
                                        ; implicit-def: $vgpr14_vgpr15
                                        ; implicit-def: $vgpr12_vgpr13
.LBB12_67:                              ;   in Loop: Header=BB12_63 Depth=2
	s_andn2_saveexec_b64 s[44:45], s[44:45]
	s_cbranch_execz .LBB12_69
; %bb.68:                               ;   in Loop: Header=BB12_63 Depth=2
	v_div_scale_f32 v16, s[48:49], v14, v14, -v15
	v_rcp_f32_e32 v17, v16
	v_div_scale_f32 v20, vcc, -v15, v14, -v15
	v_fma_f32 v21, -v16, v17, 1.0
	v_fmac_f32_e32 v17, v21, v17
	v_mul_f32_e32 v21, v20, v17
	v_fma_f32 v22, -v16, v21, v20
	v_fmac_f32_e32 v21, v22, v17
	v_fma_f32 v16, -v16, v21, v20
	v_div_fmas_f32 v16, v16, v17, v21
	v_div_fixup_f32 v16, v16, v14, -v15
	v_fma_f32 v14, -v15, v16, v14
	v_div_scale_f32 v15, s[48:49], v14, v14, 1.0
	v_rcp_f32_e32 v17, v15
	s_nop 0
	v_fma_f32 v20, -v15, v17, 1.0
	v_fmac_f32_e32 v17, v20, v17
	v_div_scale_f32 v20, vcc, 1.0, v14, 1.0
	v_mul_f32_e32 v21, v20, v17
	v_fma_f32 v22, -v15, v21, v20
	v_fmac_f32_e32 v21, v22, v17
	v_fma_f32 v15, -v15, v21, v20
	v_div_fmas_f32 v15, v15, v17, v21
	v_pk_fma_f32 v[20:21], v[16:17], v[12:13], v[12:13] op_sel:[0,1,0] op_sel_hi:[1,0,1]
	v_pk_fma_f32 v[12:13], v[16:17], v[12:13], v[12:13] op_sel:[0,1,0] op_sel_hi:[0,0,1] neg_lo:[1,0,0] neg_hi:[1,0,0]
	v_div_fixup_f32 v14, v15, v14, 1.0
	v_mov_b32_e32 v21, v13
	v_pk_mul_f32 v[16:17], v[14:15], v[20:21] op_sel_hi:[0,1]
.LBB12_69:                              ;   in Loop: Header=BB12_63 Depth=2
	s_or_b64 exec, exec, s[44:45]
	ds_write_b64 v1, v[16:17]
.LBB12_70:                              ;   in Loop: Header=BB12_63 Depth=2
	s_or_b64 exec, exec, s[2:3]
	v_cmp_lt_u32_e32 vcc, s7, v0
	v_cmp_ge_i32_e64 s[2:3], s46, v7
	s_and_b64 s[44:45], s[42:43], vcc
	s_and_b64 s[44:45], s[44:45], s[2:3]
	s_waitcnt lgkmcnt(0)
	s_barrier
	s_and_saveexec_b64 s[2:3], s[44:45]
	s_cbranch_execz .LBB12_61
; %bb.71:                               ;   in Loop: Header=BB12_63 Depth=2
	flat_load_dwordx2 v[12:13], v[10:11]
	v_mov_b32_e32 v14, s33
	ds_read_b64 v[14:15], v14
	ds_read_b64 v[16:17], v1
	s_waitcnt vmcnt(0) lgkmcnt(0)
	v_pk_mul_f32 v[20:21], v[12:13], v[14:15] op_sel:[1,1] op_sel_hi:[1,0]
	s_nop 0
	v_pk_fma_f32 v[22:23], v[12:13], v[14:15], v[20:21]
	v_pk_fma_f32 v[12:13], v[12:13], v[14:15], v[20:21] op_sel_hi:[0,1,1] neg_lo:[0,0,1] neg_hi:[0,0,1]
	v_mov_b32_e32 v23, v13
	v_pk_add_f32 v[12:13], v[16:17], v[22:23] neg_lo:[0,1] neg_hi:[0,1]
	ds_write_b64 v1, v[12:13]
	s_branch .LBB12_61
.LBB12_72:                              ;   in Loop: Header=BB12_58 Depth=1
	s_add_i32 s7, s4, 0x200
	s_cmp_ge_i32 s7, s5
	s_cselect_b64 s[2:3], -1, 0
	s_and_b64 vcc, exec, s[2:3]
	s_waitcnt lgkmcnt(0)
	s_barrier
	s_cbranch_vccnz .LBB12_104
; %bb.73:                               ;   in Loop: Header=BB12_58 Depth=1
	v_mad_i64_i32 v[8:9], s[42:43], v18, -8, v[4:5]
	s_mov_b64 s[42:43], 0
	v_mov_b32_e32 v14, v0
	s_mov_b32 s33, s7
                                        ; implicit-def: $sgpr44_sgpr45
	s_branch .LBB12_76
.LBB12_74:                              ;   in Loop: Header=BB12_76 Depth=2
	v_mad_u64_u32 v[12:13], s[48:49], s8, v15, 0
	v_mov_b32_e32 v16, v13
	v_mad_u64_u32 v[16:17], s[48:49], s9, v15, v[16:17]
	v_mov_b32_e32 v13, v16
	v_lshl_add_u64 v[12:13], v[12:13], 3, s[16:17]
	flat_load_dwordx2 v[16:17], v[12:13]
	s_addk_i32 s33, 0x200
	s_cmp_ge_i32 s33, s5
	s_cselect_b64 s[48:49], -1, 0
	s_andn2_b64 s[44:45], s[44:45], exec
	s_and_b64 s[48:49], s[48:49], exec
	v_lshl_add_u64 v[8:9], v[8:9], 0, s[38:39]
	s_or_b64 s[44:45], s[44:45], s[48:49]
	s_waitcnt vmcnt(0) lgkmcnt(0)
	v_pk_add_f32 v[10:11], v[16:17], v[10:11] neg_lo:[0,1] neg_hi:[0,1]
	flat_store_dwordx2 v[12:13], v[10:11]
.LBB12_75:                              ;   in Loop: Header=BB12_76 Depth=2
	s_or_b64 exec, exec, s[46:47]
	s_and_b64 s[46:47], exec, s[44:45]
	s_or_b64 s[42:43], s[46:47], s[42:43]
	s_andn2_b64 exec, exec, s[42:43]
	s_cbranch_execz .LBB12_103
.LBB12_76:                              ;   Parent Loop BB12_58 Depth=1
                                        ; =>  This Loop Header: Depth=2
                                        ;       Child Loop BB12_79 Depth 3
	v_add_u32_e32 v15, s33, v0
	v_cmp_gt_i32_e32 vcc, s5, v15
	s_or_b64 s[44:45], s[44:45], exec
	s_and_saveexec_b64 s[46:47], vcc
	s_cbranch_execz .LBB12_75
; %bb.77:                               ;   in Loop: Header=BB12_76 Depth=2
	v_mov_b32_e32 v7, v6
	v_subrev_u32_e32 v16, s6, v15
	v_add_u32_e32 v17, 0x1fd, v14
	v_add_u32_e32 v20, 0x1fe, v14
	;; [unrolled: 1-line block ×4, first 2 shown]
	s_mov_b32 s52, 0
	s_movk_i32 s53, 0x1000
	v_mov_b64_e32 v[12:13], v[8:9]
	v_mov_b64_e32 v[10:11], v[6:7]
	s_branch .LBB12_79
.LBB12_78:                              ;   in Loop: Header=BB12_79 Depth=3
	s_or_b64 exec, exec, s[48:49]
	s_add_i32 s52, s52, 4
	s_add_i32 s53, s53, 32
	s_cmpk_eq_i32 s52, 0x200
	v_lshl_add_u64 v[12:13], v[12:13], 0, 32
	s_cbranch_scc1 .LBB12_74
.LBB12_79:                              ;   Parent Loop BB12_58 Depth=1
                                        ;     Parent Loop BB12_76 Depth=2
                                        ; =>    This Inner Loop Header: Depth=3
	v_cmp_ne_u32_e32 vcc, s52, v14
	s_add_i32 s54, s4, s52
	s_or_b64 s[48:49], s[40:41], vcc
	s_and_saveexec_b64 s[50:51], s[48:49]
	s_xor_b64 s[48:49], exec, s[50:51]
	s_cbranch_execz .LBB12_83
; %bb.80:                               ;   in Loop: Header=BB12_79 Depth=3
	s_cmp_lt_i32 s54, s5
	s_cselect_b64 s[50:51], -1, 0
	v_cmp_ge_i32_e32 vcc, s54, v16
	s_and_b64 s[56:57], s[50:51], vcc
	s_and_saveexec_b64 s[50:51], s[56:57]
	s_cbranch_execz .LBB12_82
; %bb.81:                               ;   in Loop: Header=BB12_79 Depth=3
	flat_load_dwordx2 v[22:23], v[12:13]
	v_mov_b32_e32 v7, s53
	ds_read_b64 v[24:25], v7
	s_waitcnt vmcnt(0) lgkmcnt(0)
	v_pk_mul_f32 v[26:27], v[22:23], v[24:25] op_sel:[1,1] op_sel_hi:[1,0]
	s_nop 0
	v_pk_fma_f32 v[28:29], v[22:23], v[24:25], v[26:27]
	v_pk_fma_f32 v[22:23], v[22:23], v[24:25], v[26:27] op_sel_hi:[0,1,1] neg_lo:[0,0,1] neg_hi:[0,0,1]
	v_mov_b32_e32 v29, v23
	v_pk_add_f32 v[10:11], v[10:11], v[28:29]
.LBB12_82:                              ;   in Loop: Header=BB12_79 Depth=3
	s_or_b64 exec, exec, s[50:51]
.LBB12_83:                              ;   in Loop: Header=BB12_79 Depth=3
	s_andn2_saveexec_b64 s[48:49], s[48:49]
	s_cbranch_execz .LBB12_85
; %bb.84:                               ;   in Loop: Header=BB12_79 Depth=3
	v_mov_b32_e32 v7, s53
	ds_read_b64 v[22:23], v7
	s_waitcnt lgkmcnt(0)
	v_pk_add_f32 v[10:11], v[10:11], v[22:23]
.LBB12_85:                              ;   in Loop: Header=BB12_79 Depth=3
	s_or_b64 exec, exec, s[48:49]
	v_cmp_ne_u32_e32 vcc, s52, v21
	s_or_b64 s[48:49], s[40:41], vcc
	s_and_saveexec_b64 s[50:51], s[48:49]
	s_xor_b64 s[48:49], exec, s[50:51]
	s_cbranch_execz .LBB12_89
; %bb.86:                               ;   in Loop: Header=BB12_79 Depth=3
	s_add_i32 s55, s54, 1
	s_cmp_lt_i32 s55, s5
	s_cselect_b64 s[50:51], -1, 0
	v_cmp_ge_i32_e32 vcc, s55, v16
	s_and_b64 s[56:57], s[50:51], vcc
	s_and_saveexec_b64 s[50:51], s[56:57]
	s_cbranch_execz .LBB12_88
; %bb.87:                               ;   in Loop: Header=BB12_79 Depth=3
	flat_load_dwordx2 v[22:23], v[12:13] offset:8
	v_mov_b32_e32 v7, s53
	ds_read_b64 v[24:25], v7 offset:8
	s_waitcnt vmcnt(0) lgkmcnt(0)
	v_pk_mul_f32 v[26:27], v[22:23], v[24:25] op_sel:[1,1] op_sel_hi:[1,0]
	s_nop 0
	v_pk_fma_f32 v[28:29], v[22:23], v[24:25], v[26:27]
	v_pk_fma_f32 v[22:23], v[22:23], v[24:25], v[26:27] op_sel_hi:[0,1,1] neg_lo:[0,0,1] neg_hi:[0,0,1]
	v_mov_b32_e32 v29, v23
	v_pk_add_f32 v[10:11], v[10:11], v[28:29]
.LBB12_88:                              ;   in Loop: Header=BB12_79 Depth=3
	s_or_b64 exec, exec, s[50:51]
.LBB12_89:                              ;   in Loop: Header=BB12_79 Depth=3
	s_andn2_saveexec_b64 s[48:49], s[48:49]
	s_cbranch_execz .LBB12_91
; %bb.90:                               ;   in Loop: Header=BB12_79 Depth=3
	v_mov_b32_e32 v7, s53
	ds_read_b64 v[22:23], v7 offset:8
	s_waitcnt lgkmcnt(0)
	v_pk_add_f32 v[10:11], v[10:11], v[22:23]
.LBB12_91:                              ;   in Loop: Header=BB12_79 Depth=3
	s_or_b64 exec, exec, s[48:49]
	v_cmp_ne_u32_e32 vcc, s52, v20
	s_or_b64 s[48:49], s[40:41], vcc
	s_and_saveexec_b64 s[50:51], s[48:49]
	s_xor_b64 s[48:49], exec, s[50:51]
	s_cbranch_execz .LBB12_95
; %bb.92:                               ;   in Loop: Header=BB12_79 Depth=3
	s_add_i32 s55, s54, 2
	s_cmp_lt_i32 s55, s5
	s_cselect_b64 s[50:51], -1, 0
	v_cmp_ge_i32_e32 vcc, s55, v16
	s_and_b64 s[56:57], s[50:51], vcc
	s_and_saveexec_b64 s[50:51], s[56:57]
	s_cbranch_execz .LBB12_94
; %bb.93:                               ;   in Loop: Header=BB12_79 Depth=3
	flat_load_dwordx2 v[22:23], v[12:13] offset:16
	v_mov_b32_e32 v7, s53
	ds_read_b64 v[24:25], v7 offset:16
	s_waitcnt vmcnt(0) lgkmcnt(0)
	v_pk_mul_f32 v[26:27], v[22:23], v[24:25] op_sel:[1,1] op_sel_hi:[1,0]
	s_nop 0
	v_pk_fma_f32 v[28:29], v[22:23], v[24:25], v[26:27]
	v_pk_fma_f32 v[22:23], v[22:23], v[24:25], v[26:27] op_sel_hi:[0,1,1] neg_lo:[0,0,1] neg_hi:[0,0,1]
	v_mov_b32_e32 v29, v23
	v_pk_add_f32 v[10:11], v[10:11], v[28:29]
.LBB12_94:                              ;   in Loop: Header=BB12_79 Depth=3
	s_or_b64 exec, exec, s[50:51]
.LBB12_95:                              ;   in Loop: Header=BB12_79 Depth=3
	s_andn2_saveexec_b64 s[48:49], s[48:49]
	s_cbranch_execz .LBB12_97
; %bb.96:                               ;   in Loop: Header=BB12_79 Depth=3
	v_mov_b32_e32 v7, s53
	ds_read_b64 v[22:23], v7 offset:16
	s_waitcnt lgkmcnt(0)
	v_pk_add_f32 v[10:11], v[10:11], v[22:23]
.LBB12_97:                              ;   in Loop: Header=BB12_79 Depth=3
	s_or_b64 exec, exec, s[48:49]
	v_cmp_ne_u32_e32 vcc, s52, v17
	s_or_b64 s[48:49], s[40:41], vcc
	s_and_saveexec_b64 s[50:51], s[48:49]
	s_xor_b64 s[48:49], exec, s[50:51]
	s_cbranch_execz .LBB12_101
; %bb.98:                               ;   in Loop: Header=BB12_79 Depth=3
	s_add_i32 s54, s54, 3
	s_cmp_lt_i32 s54, s5
	s_cselect_b64 s[50:51], -1, 0
	v_cmp_ge_i32_e32 vcc, s54, v16
	s_and_b64 s[54:55], s[50:51], vcc
	s_and_saveexec_b64 s[50:51], s[54:55]
	s_cbranch_execz .LBB12_100
; %bb.99:                               ;   in Loop: Header=BB12_79 Depth=3
	flat_load_dwordx2 v[22:23], v[12:13] offset:24
	v_mov_b32_e32 v7, s53
	ds_read_b64 v[24:25], v7 offset:24
	s_waitcnt vmcnt(0) lgkmcnt(0)
	v_pk_mul_f32 v[26:27], v[22:23], v[24:25] op_sel:[1,1] op_sel_hi:[1,0]
	s_nop 0
	v_pk_fma_f32 v[28:29], v[22:23], v[24:25], v[26:27]
	v_pk_fma_f32 v[22:23], v[22:23], v[24:25], v[26:27] op_sel_hi:[0,1,1] neg_lo:[0,0,1] neg_hi:[0,0,1]
	v_mov_b32_e32 v29, v23
	v_pk_add_f32 v[10:11], v[10:11], v[28:29]
.LBB12_100:                             ;   in Loop: Header=BB12_79 Depth=3
	s_or_b64 exec, exec, s[50:51]
.LBB12_101:                             ;   in Loop: Header=BB12_79 Depth=3
	s_andn2_saveexec_b64 s[48:49], s[48:49]
	s_cbranch_execz .LBB12_78
; %bb.102:                              ;   in Loop: Header=BB12_79 Depth=3
	v_mov_b32_e32 v7, s53
	ds_read_b64 v[22:23], v7 offset:24
	s_waitcnt lgkmcnt(0)
	v_pk_add_f32 v[10:11], v[10:11], v[22:23]
	s_branch .LBB12_78
.LBB12_103:                             ;   in Loop: Header=BB12_58 Depth=1
	s_or_b64 exec, exec, s[42:43]
.LBB12_104:                             ;   in Loop: Header=BB12_58 Depth=1
	s_and_saveexec_b64 s[42:43], s[0:1]
	s_cbranch_execz .LBB12_57
; %bb.105:                              ;   in Loop: Header=BB12_58 Depth=1
	v_mad_u64_u32 v[8:9], s[0:1], s8, v19, 0
	ds_read_b64 v[12:13], v1
	v_mov_b32_e32 v10, v9
	v_mad_u64_u32 v[10:11], s[0:1], s9, v19, v[10:11]
	v_mov_b32_e32 v9, v10
	v_lshl_add_u64 v[8:9], v[8:9], 3, s[16:17]
	s_waitcnt lgkmcnt(0)
	flat_store_dwordx2 v[8:9], v[12:13]
	s_branch .LBB12_57
.LBB12_106:
	s_mov_b64 s[0:1], 0
.LBB12_107:
	s_andn2_b64 vcc, exec, s[0:1]
	s_cbranch_vccnz .LBB12_189
; %bb.108:
	s_mov_b64 s[0:1], -1
	s_and_b64 vcc, exec, s[26:27]
	s_cbranch_vccz .LBB12_149
; %bb.109:
	s_andn2_b64 vcc, exec, s[24:25]
	s_cbranch_vccnz .LBB12_148
; %bb.110:
	s_lshl_b64 s[26:27], s[12:13], 12
	s_lshl_b64 s[28:29], s[12:13], 3
	s_add_u32 s30, s20, s28
	s_addc_u32 s31, s21, s29
	s_lshl_b64 s[0:1], s[12:13], 4
	s_add_u32 s4, s0, -16
	v_lshlrev_b32_e32 v1, 3, v0
	v_or_b32_e32 v2, 0x200, v0
	s_addc_u32 s7, s1, -1
	s_mov_b32 s33, 0
	s_mov_b64 s[34:35], -1
	s_mov_b64 s[36:37], 0
	s_xor_b64 s[38:39], s[18:19], -1
	v_mov_b32_e32 v5, 0
	s_mov_b64 s[40:41], 0
	s_mov_b64 s[42:43], s[14:15]
	s_branch .LBB12_112
.LBB12_111:                             ;   in Loop: Header=BB12_112 Depth=1
	s_or_b64 exec, exec, s[44:45]
	s_add_u32 s42, s42, s26
	s_addc_u32 s43, s43, s27
	s_add_u32 s34, s34, 0xfffffe00
	s_addc_u32 s35, s35, -1
	s_add_u32 s40, s40, s26
	s_addc_u32 s41, s41, s27
	s_add_u32 s36, s36, 0xfffffe00
	v_add_u32_e32 v2, 0x200, v2
	s_addc_u32 s37, s37, -1
	s_and_b64 vcc, exec, s[2:3]
	s_mov_b32 s33, s60
	s_waitcnt lgkmcnt(0)
	s_barrier
	s_cbranch_vccnz .LBB12_148
.LBB12_112:                             ; =>This Loop Header: Depth=1
                                        ;     Child Loop BB12_116 Depth 2
                                        ;     Child Loop BB12_130 Depth 2
                                        ;       Child Loop BB12_133 Depth 3
	v_add_u32_e32 v12, s33, v0
	v_cmp_le_i32_e32 vcc, s5, v12
	v_cmp_gt_i32_e64 s[0:1], s5, v12
	s_and_saveexec_b64 s[2:3], s[0:1]
	s_cbranch_execz .LBB12_114
; %bb.113:                              ;   in Loop: Header=BB12_112 Depth=1
	v_mad_u64_u32 v[6:7], s[44:45], s8, v12, 0
	v_mov_b32_e32 v4, v7
	v_mad_u64_u32 v[8:9], s[44:45], s9, v12, v[4:5]
	v_mov_b32_e32 v7, v8
	v_lshl_add_u64 v[6:7], v[6:7], 3, s[16:17]
	flat_load_dwordx2 v[6:7], v[6:7]
	s_waitcnt vmcnt(0) lgkmcnt(0)
	ds_write_b64 v1, v[6:7]
.LBB12_114:                             ;   in Loop: Header=BB12_112 Depth=1
	s_or_b64 exec, exec, s[2:3]
	v_subrev_u32_e32 v3, s6, v12
	s_mov_b32 s50, 0
	s_xor_b64 s[44:45], vcc, -1
	s_mov_b64 s[46:47], s[42:43]
	v_mov_b32_e32 v4, v0
	s_mov_b32 s51, 0
	s_waitcnt lgkmcnt(0)
	s_barrier
	s_branch .LBB12_116
.LBB12_115:                             ;   in Loop: Header=BB12_116 Depth=2
                                        ; implicit-def: $sgpr51
                                        ; implicit-def: $sgpr50
                                        ; implicit-def: $sgpr46_sgpr47
	s_cbranch_execnz .LBB12_126
.LBB12_116:                             ;   Parent Loop BB12_112 Depth=1
                                        ; =>  This Inner Loop Header: Depth=2
	s_add_i32 s52, s33, s51
	s_cmp_ge_i32 s52, s5
	s_cbranch_scc1 .LBB12_115
; %bb.117:                              ;   in Loop: Header=BB12_116 Depth=2
	v_cmp_eq_u32_e32 vcc, s51, v0
	s_and_b64 s[48:49], s[38:39], vcc
	s_and_saveexec_b64 s[2:3], s[48:49]
	s_cbranch_execz .LBB12_123
; %bb.118:                              ;   in Loop: Header=BB12_116 Depth=2
	v_mov_b64_e32 v[6:7], s[46:47]
	flat_load_dwordx2 v[8:9], v[6:7]
	ds_read_b64 v[6:7], v1
                                        ; implicit-def: $vgpr10_vgpr11
	s_waitcnt vmcnt(0) lgkmcnt(0)
	v_cmp_ngt_f32_e64 s[48:49], |v8|, |v9|
	s_and_saveexec_b64 s[54:55], s[48:49]
	s_xor_b64 s[48:49], exec, s[54:55]
	s_cbranch_execz .LBB12_120
; %bb.119:                              ;   in Loop: Header=BB12_116 Depth=2
	v_div_scale_f32 v10, s[54:55], v9, v9, v8
	v_rcp_f32_e32 v11, v10
	v_div_scale_f32 v13, vcc, v8, v9, v8
	v_fma_f32 v14, -v10, v11, 1.0
	v_fmac_f32_e32 v11, v14, v11
	v_mul_f32_e32 v14, v13, v11
	v_fma_f32 v15, -v10, v14, v13
	v_fmac_f32_e32 v14, v15, v11
	v_fma_f32 v10, -v10, v14, v13
	v_div_fmas_f32 v10, v10, v11, v14
	v_div_fixup_f32 v10, v10, v9, v8
	v_fmac_f32_e32 v9, v8, v10
	v_div_scale_f32 v8, s[54:55], v9, v9, 1.0
	v_rcp_f32_e32 v11, v8
	s_nop 0
	v_fma_f32 v13, -v8, v11, 1.0
	v_fmac_f32_e32 v11, v13, v11
	v_div_scale_f32 v13, vcc, 1.0, v9, 1.0
	v_mul_f32_e32 v14, v13, v11
	v_fma_f32 v15, -v8, v14, v13
	v_fmac_f32_e32 v14, v15, v11
	v_fma_f32 v8, -v8, v14, v13
	v_div_fmas_f32 v8, v8, v11, v14
	v_pk_fma_f32 v[14:15], v[10:11], v[6:7], v[6:7] op_sel:[0,0,1] op_sel_hi:[1,1,0]
	v_pk_fma_f32 v[6:7], v[10:11], v[6:7], v[6:7] op_sel:[0,0,1] op_sel_hi:[0,1,0] neg_lo:[0,0,1] neg_hi:[0,0,1]
	v_div_fixup_f32 v8, v8, v9, 1.0
	v_mov_b32_e32 v15, v7
	v_pk_mul_f32 v[10:11], v[8:9], v[14:15] op_sel_hi:[0,1]
                                        ; implicit-def: $vgpr8_vgpr9
                                        ; implicit-def: $vgpr6_vgpr7
.LBB12_120:                             ;   in Loop: Header=BB12_116 Depth=2
	s_andn2_saveexec_b64 s[48:49], s[48:49]
	s_cbranch_execz .LBB12_122
; %bb.121:                              ;   in Loop: Header=BB12_116 Depth=2
	v_div_scale_f32 v10, s[54:55], v8, v8, v9
	v_rcp_f32_e32 v11, v10
	v_div_scale_f32 v13, vcc, v9, v8, v9
	v_fma_f32 v14, -v10, v11, 1.0
	v_fmac_f32_e32 v11, v14, v11
	v_mul_f32_e32 v14, v13, v11
	v_fma_f32 v15, -v10, v14, v13
	v_fmac_f32_e32 v14, v15, v11
	v_fma_f32 v10, -v10, v14, v13
	v_div_fmas_f32 v10, v10, v11, v14
	v_div_fixup_f32 v10, v10, v8, v9
	v_fmac_f32_e32 v8, v9, v10
	v_div_scale_f32 v9, s[54:55], v8, v8, 1.0
	v_rcp_f32_e32 v11, v9
	s_nop 0
	v_fma_f32 v13, -v9, v11, 1.0
	v_fmac_f32_e32 v11, v13, v11
	v_div_scale_f32 v13, vcc, 1.0, v8, 1.0
	v_mul_f32_e32 v14, v13, v11
	v_fma_f32 v15, -v9, v14, v13
	v_fmac_f32_e32 v14, v15, v11
	v_fma_f32 v9, -v9, v14, v13
	v_div_fmas_f32 v9, v9, v11, v14
	v_pk_fma_f32 v[14:15], v[10:11], v[6:7], v[6:7] op_sel:[0,1,0] op_sel_hi:[1,0,1]
	v_pk_fma_f32 v[6:7], v[10:11], v[6:7], v[6:7] op_sel:[0,1,0] op_sel_hi:[0,0,1] neg_lo:[1,0,0] neg_hi:[1,0,0]
	v_div_fixup_f32 v8, v9, v8, 1.0
	v_mov_b32_e32 v15, v7
	v_pk_mul_f32 v[10:11], v[8:9], v[14:15] op_sel_hi:[0,1]
.LBB12_122:                             ;   in Loop: Header=BB12_116 Depth=2
	s_or_b64 exec, exec, s[48:49]
	ds_write_b64 v1, v[10:11]
.LBB12_123:                             ;   in Loop: Header=BB12_116 Depth=2
	s_or_b64 exec, exec, s[2:3]
	v_cmp_lt_u32_e32 vcc, s51, v0
	v_cmp_ge_i32_e64 s[2:3], s52, v3
	s_and_b64 s[48:49], s[44:45], vcc
	s_and_b64 s[48:49], s[48:49], s[2:3]
	s_waitcnt lgkmcnt(0)
	s_barrier
	s_and_saveexec_b64 s[2:3], s[48:49]
	s_cbranch_execz .LBB12_125
; %bb.124:                              ;   in Loop: Header=BB12_116 Depth=2
	v_lshl_add_u64 v[6:7], v[4:5], 3, s[46:47]
	flat_load_dwordx2 v[6:7], v[6:7]
	v_mov_b32_e32 v8, s50
	ds_read_b64 v[8:9], v8
	ds_read_b64 v[10:11], v1
	s_waitcnt vmcnt(0) lgkmcnt(0)
	v_pk_mul_f32 v[14:15], v[8:9], v[6:7] op_sel:[1,1] op_sel_hi:[0,1]
	v_pk_fma_f32 v[16:17], v[8:9], v[6:7], v[14:15] neg_lo:[0,0,1] neg_hi:[0,0,1]
	v_pk_fma_f32 v[6:7], v[8:9], v[6:7], v[14:15] op_sel_hi:[1,0,1]
	s_nop 0
	v_mov_b32_e32 v17, v7
	v_pk_add_f32 v[6:7], v[10:11], v[16:17] neg_lo:[0,1] neg_hi:[0,1]
	ds_write_b64 v1, v[6:7]
.LBB12_125:                             ;   in Loop: Header=BB12_116 Depth=2
	s_or_b64 exec, exec, s[2:3]
	s_add_i32 s51, s51, 1
	s_add_i32 s50, s50, 8
	s_add_u32 s46, s46, s28
	s_addc_u32 s47, s47, s29
	s_cmpk_eq_i32 s51, 0x200
	v_add_u32_e32 v4, -1, v4
	s_cselect_b64 s[2:3], -1, 0
	s_and_b64 vcc, exec, s[2:3]
	s_cbranch_vccz .LBB12_116
.LBB12_126:                             ;   in Loop: Header=BB12_112 Depth=1
	s_add_i32 s60, s33, 0x200
	s_cmp_ge_i32 s60, s5
	s_cselect_b64 s[2:3], -1, 0
	s_and_b64 vcc, exec, s[2:3]
	s_waitcnt lgkmcnt(0)
	s_barrier
	s_cbranch_vccnz .LBB12_146
; %bb.127:                              ;   in Loop: Header=BB12_112 Depth=1
	v_ashrrev_i32_e32 v3, 31, v2
	v_lshl_add_u64 v[6:7], s[34:35], 0, v[2:3]
	v_lshl_add_u64 v[8:9], s[36:37], 0, v[2:3]
	v_lshlrev_b64 v[6:7], 3, v[6:7]
	v_lshlrev_b64 v[8:9], 3, v[8:9]
	s_mov_b64 s[44:45], 0
	v_mov_b32_e32 v3, v0
	s_mov_b64 s[46:47], s[40:41]
	s_mov_b32 s61, s60
                                        ; implicit-def: $sgpr48_sgpr49
	s_branch .LBB12_130
.LBB12_128:                             ;   in Loop: Header=BB12_130 Depth=2
	v_mad_u64_u32 v[14:15], s[52:53], s8, v13, 0
	v_mov_b32_e32 v4, v15
	v_mad_u64_u32 v[16:17], s[52:53], s9, v13, v[4:5]
	v_mov_b32_e32 v15, v16
	v_lshl_add_u64 v[14:15], v[14:15], 3, s[16:17]
	flat_load_dwordx2 v[16:17], v[14:15]
	s_addk_i32 s61, 0x200
	s_add_u32 s46, s46, 0x1000
	s_addc_u32 s47, s47, 0
	s_cmp_ge_i32 s61, s5
	s_cselect_b64 s[52:53], -1, 0
	s_andn2_b64 s[48:49], s[48:49], exec
	s_and_b64 s[52:53], s[52:53], exec
	s_or_b64 s[48:49], s[48:49], s[52:53]
	s_waitcnt vmcnt(0) lgkmcnt(0)
	v_pk_add_f32 v[10:11], v[16:17], v[10:11] neg_lo:[0,1] neg_hi:[0,1]
	flat_store_dwordx2 v[14:15], v[10:11]
.LBB12_129:                             ;   in Loop: Header=BB12_130 Depth=2
	s_or_b64 exec, exec, s[50:51]
	s_and_b64 s[50:51], exec, s[48:49]
	s_or_b64 s[44:45], s[50:51], s[44:45]
	s_andn2_b64 exec, exec, s[44:45]
	s_cbranch_execz .LBB12_145
.LBB12_130:                             ;   Parent Loop BB12_112 Depth=1
                                        ; =>  This Loop Header: Depth=2
                                        ;       Child Loop BB12_133 Depth 3
	v_add_u32_e32 v13, s61, v0
	v_cmp_gt_i32_e32 vcc, s5, v13
	s_or_b64 s[48:49], s[48:49], exec
	s_and_saveexec_b64 s[50:51], vcc
	s_cbranch_execz .LBB12_129
; %bb.131:                              ;   in Loop: Header=BB12_130 Depth=2
	v_mov_b32_e32 v4, v5
	v_subrev_u32_e32 v14, s6, v13
	v_add_u32_e32 v15, 0x1ff, v3
	v_add_u32_e32 v3, 0x200, v3
	s_mov_b32 s62, 0
	s_mov_b64 s[52:53], s[20:21]
	s_mov_b64 s[54:55], s[30:31]
	s_mov_b32 s63, 0
	v_mov_b64_e32 v[10:11], v[4:5]
	s_branch .LBB12_133
.LBB12_132:                             ;   in Loop: Header=BB12_133 Depth=3
	s_or_b64 exec, exec, s[56:57]
	s_add_i32 s63, s63, 2
	s_add_u32 s54, s54, s4
	s_addc_u32 s55, s55, s7
	s_add_i32 s62, s62, 16
	s_add_u32 s52, s52, s4
	s_addc_u32 s53, s53, s7
	s_cmpk_eq_i32 s63, 0x200
	s_cbranch_scc1 .LBB12_128
.LBB12_133:                             ;   Parent Loop BB12_112 Depth=1
                                        ;     Parent Loop BB12_130 Depth=2
                                        ; =>    This Inner Loop Header: Depth=3
	v_cmp_ne_u32_e32 vcc, s63, v3
	s_add_i32 s64, s33, s63
	s_or_b64 s[56:57], s[38:39], vcc
	s_and_saveexec_b64 s[58:59], s[56:57]
	s_xor_b64 s[56:57], exec, s[58:59]
	s_cbranch_execz .LBB12_137
; %bb.134:                              ;   in Loop: Header=BB12_133 Depth=3
	s_cmp_lt_i32 s64, s5
	s_cselect_b64 s[58:59], -1, 0
	v_cmp_ge_i32_e32 vcc, s64, v14
	s_and_b64 s[66:67], s[58:59], vcc
	s_and_saveexec_b64 s[58:59], s[66:67]
	s_cbranch_execz .LBB12_136
; %bb.135:                              ;   in Loop: Header=BB12_133 Depth=3
	s_add_u32 s66, s52, s22
	s_addc_u32 s67, s53, s23
	v_lshl_add_u64 v[16:17], s[66:67], 0, v[8:9]
	v_lshl_add_u64 v[16:17], v[16:17], 0, s[46:47]
	flat_load_dwordx2 v[16:17], v[16:17]
	v_mov_b32_e32 v4, s62
	ds_read_b64 v[18:19], v4
	s_waitcnt vmcnt(0) lgkmcnt(0)
	v_pk_mul_f32 v[20:21], v[18:19], v[16:17] op_sel:[1,1] op_sel_hi:[0,1]
	v_pk_fma_f32 v[22:23], v[18:19], v[16:17], v[20:21] neg_lo:[0,0,1] neg_hi:[0,0,1]
	v_pk_fma_f32 v[16:17], v[18:19], v[16:17], v[20:21] op_sel_hi:[1,0,1]
	s_nop 0
	v_mov_b32_e32 v23, v17
	v_pk_add_f32 v[10:11], v[10:11], v[22:23]
.LBB12_136:                             ;   in Loop: Header=BB12_133 Depth=3
	s_or_b64 exec, exec, s[58:59]
.LBB12_137:                             ;   in Loop: Header=BB12_133 Depth=3
	s_andn2_saveexec_b64 s[56:57], s[56:57]
	s_cbranch_execz .LBB12_139
; %bb.138:                              ;   in Loop: Header=BB12_133 Depth=3
	v_mov_b32_e32 v4, s62
	ds_read_b64 v[16:17], v4
	s_waitcnt lgkmcnt(0)
	v_pk_add_f32 v[10:11], v[10:11], v[16:17]
.LBB12_139:                             ;   in Loop: Header=BB12_133 Depth=3
	s_or_b64 exec, exec, s[56:57]
	v_cmp_ne_u32_e32 vcc, s63, v15
	s_or_b64 s[56:57], s[38:39], vcc
	s_and_saveexec_b64 s[58:59], s[56:57]
	s_xor_b64 s[56:57], exec, s[58:59]
	s_cbranch_execz .LBB12_143
; %bb.140:                              ;   in Loop: Header=BB12_133 Depth=3
	s_add_i32 s64, s64, 1
	s_cmp_lt_i32 s64, s5
	s_cselect_b64 s[58:59], -1, 0
	v_cmp_ge_i32_e32 vcc, s64, v14
	s_and_b64 s[64:65], s[58:59], vcc
	s_and_saveexec_b64 s[58:59], s[64:65]
	s_cbranch_execz .LBB12_142
; %bb.141:                              ;   in Loop: Header=BB12_133 Depth=3
	s_add_u32 s64, s54, s22
	s_addc_u32 s65, s55, s23
	v_lshl_add_u64 v[16:17], s[64:65], 0, v[6:7]
	v_lshl_add_u64 v[16:17], v[16:17], 0, s[46:47]
	flat_load_dwordx2 v[16:17], v[16:17]
	v_mov_b32_e32 v4, s62
	ds_read_b64 v[18:19], v4 offset:8
	s_waitcnt vmcnt(0) lgkmcnt(0)
	v_pk_mul_f32 v[20:21], v[18:19], v[16:17] op_sel:[1,1] op_sel_hi:[0,1]
	v_pk_fma_f32 v[22:23], v[18:19], v[16:17], v[20:21] neg_lo:[0,0,1] neg_hi:[0,0,1]
	v_pk_fma_f32 v[16:17], v[18:19], v[16:17], v[20:21] op_sel_hi:[1,0,1]
	s_nop 0
	v_mov_b32_e32 v23, v17
	v_pk_add_f32 v[10:11], v[10:11], v[22:23]
.LBB12_142:                             ;   in Loop: Header=BB12_133 Depth=3
	s_or_b64 exec, exec, s[58:59]
.LBB12_143:                             ;   in Loop: Header=BB12_133 Depth=3
	s_andn2_saveexec_b64 s[56:57], s[56:57]
	s_cbranch_execz .LBB12_132
; %bb.144:                              ;   in Loop: Header=BB12_133 Depth=3
	v_mov_b32_e32 v4, s62
	ds_read_b64 v[16:17], v4 offset:8
	s_waitcnt lgkmcnt(0)
	v_pk_add_f32 v[10:11], v[10:11], v[16:17]
	s_branch .LBB12_132
.LBB12_145:                             ;   in Loop: Header=BB12_112 Depth=1
	s_or_b64 exec, exec, s[44:45]
.LBB12_146:                             ;   in Loop: Header=BB12_112 Depth=1
	s_and_saveexec_b64 s[44:45], s[0:1]
	s_cbranch_execz .LBB12_111
; %bb.147:                              ;   in Loop: Header=BB12_112 Depth=1
	v_mad_u64_u32 v[6:7], s[0:1], s8, v12, 0
	ds_read_b64 v[8:9], v1
	v_mov_b32_e32 v4, v7
	v_mad_u64_u32 v[10:11], s[0:1], s9, v12, v[4:5]
	v_mov_b32_e32 v7, v10
	v_lshl_add_u64 v[6:7], v[6:7], 3, s[16:17]
	s_waitcnt lgkmcnt(0)
	flat_store_dwordx2 v[6:7], v[8:9]
	s_branch .LBB12_111
.LBB12_148:
	s_mov_b64 s[0:1], 0
.LBB12_149:
	s_andn2_b64 vcc, exec, s[0:1]
	s_cbranch_vccnz .LBB12_189
; %bb.150:
	s_andn2_b64 vcc, exec, s[24:25]
	s_cbranch_vccnz .LBB12_189
; %bb.151:
	s_ashr_i32 s7, s6, 31
	s_add_i32 s30, s5, 0xfffffe00
	s_add_i32 s24, s5, -1
	s_lshl_b64 s[0:1], s[6:7], 3
	s_add_u32 s2, s22, s0
	s_addc_u32 s3, s23, s1
	s_ashr_i32 s25, s24, 31
	s_lshl_b64 s[0:1], s[24:25], 3
	s_sub_u32 s0, s2, s0
	s_subb_u32 s1, s3, s1
	s_add_u32 s22, s20, s0
	s_addc_u32 s23, s21, s1
	s_lshl_b64 s[26:27], s[12:13], 3
	s_add_u32 s4, s26, 8
	s_addc_u32 s25, s27, 0
	s_sub_i32 s0, s6, s5
	s_add_i32 s33, s0, 0x1ff
	s_add_u32 s0, s10, s6
	s_addc_u32 s1, s11, s7
	s_ashr_i32 s3, s5, 31
	s_mov_b32 s2, s5
	s_lshl_b64 s[0:1], s[0:1], 3
	s_lshl_b64 s[2:3], s[2:3], 3
	s_sub_u32 s0, s0, s2
	s_subb_u32 s1, s1, s3
	s_add_u32 s0, s20, s0
	s_addc_u32 s1, s21, s1
	s_add_u32 s7, s0, 0x1000
	s_addc_u32 s42, s1, 0
	s_lshl_b64 s[0:1], s[12:13], 4
	v_mov_b32_e32 v1, 0x2000
	v_add_u32_e32 v3, s5, v0
	s_add_u32 s10, s0, -16
	v_lshl_or_b32 v1, v0, 3, v1
	v_add_u32_e32 v2, 0xfffffe00, v3
	v_add_u32_e32 v16, 0xfffffc00, v3
	s_addc_u32 s11, s1, -1
	v_mov_b32_e32 v5, 0
	s_xor_b64 s[18:19], s[18:19], -1
	s_branch .LBB12_153
.LBB12_152:                             ;   in Loop: Header=BB12_153 Depth=1
	s_or_b64 exec, exec, s[20:21]
	s_addk_i32 s24, 0xfe00
	s_add_u32 s22, s22, 0x1000
	s_addc_u32 s23, s23, 0
	s_addk_i32 s5, 0xfe00
	s_addk_i32 s33, 0x200
	s_add_u32 s7, s7, 0x1000
	v_add_u32_e32 v2, 0xfffffe00, v2
	s_addc_u32 s42, s42, 0
	v_add_u32_e32 v16, 0xfffffe00, v16
	s_and_b64 vcc, exec, s[2:3]
	s_mov_b32 s30, s43
	s_waitcnt lgkmcnt(0)
	s_barrier
	s_cbranch_vccnz .LBB12_189
.LBB12_153:                             ; =>This Loop Header: Depth=1
                                        ;     Child Loop BB12_158 Depth 2
                                        ;     Child Loop BB12_171 Depth 2
                                        ;       Child Loop BB12_174 Depth 3
	v_add_u32_e32 v17, s30, v0
	v_cmp_gt_i32_e32 vcc, 0, v17
	v_cmp_lt_i32_e64 s[0:1], -1, v17
	s_and_saveexec_b64 s[2:3], s[0:1]
	s_cbranch_execz .LBB12_155
; %bb.154:                              ;   in Loop: Header=BB12_153 Depth=1
	v_mad_u64_u32 v[6:7], s[20:21], s8, v17, 0
	v_mov_b32_e32 v4, v7
	v_mad_u64_u32 v[8:9], s[20:21], s9, v17, v[4:5]
	v_mov_b32_e32 v7, v8
	v_lshl_add_u64 v[6:7], v[6:7], 3, s[16:17]
	flat_load_dwordx2 v[6:7], v[6:7]
	s_waitcnt vmcnt(0) lgkmcnt(0)
	ds_write_b64 v1, v[6:7]
.LBB12_155:                             ;   in Loop: Header=BB12_153 Depth=1
	s_or_b64 exec, exec, s[2:3]
	v_mov_b32_e32 v3, v5
	v_mov_b64_e32 v[6:7], s[22:23]
	v_lshl_add_u64 v[8:9], v[2:3], 3, s[22:23]
	v_add_u32_e32 v3, s6, v17
	s_movk_i32 s31, 0x1ff
	s_movk_i32 s34, 0x2ff8
	s_xor_b64 s[20:21], vcc, -1
	s_mov_b32 s35, s24
	s_waitcnt lgkmcnt(0)
	s_barrier
	s_branch .LBB12_158
.LBB12_156:                             ;   in Loop: Header=BB12_158 Depth=2
	s_or_b64 exec, exec, s[2:3]
	s_add_i32 s31, s31, -1
	s_add_i32 s34, s34, -8
	;; [unrolled: 1-line block ×3, first 2 shown]
	s_cmp_eq_u32 s31, -1
	v_lshl_add_u64 v[8:9], v[8:9], 0, 8
	v_lshl_add_u64 v[6:7], v[6:7], 0, 8
	s_cselect_b64 s[2:3], -1, 0
.LBB12_157:                             ;   in Loop: Header=BB12_158 Depth=2
	s_and_b64 vcc, exec, s[2:3]
	s_cbranch_vccnz .LBB12_167
.LBB12_158:                             ;   Parent Loop BB12_153 Depth=1
                                        ; =>  This Inner Loop Header: Depth=2
	s_add_i32 s36, s24, s31
	s_addk_i32 s36, 0xfe01
	s_cmp_lt_i32 s36, 0
	s_mov_b64 s[2:3], -1
	s_cbranch_scc1 .LBB12_157
; %bb.159:                              ;   in Loop: Header=BB12_158 Depth=2
	v_cmp_eq_u32_e32 vcc, s31, v0
	s_and_b64 s[28:29], s[18:19], vcc
	s_and_saveexec_b64 s[2:3], s[28:29]
	s_cbranch_execz .LBB12_165
; %bb.160:                              ;   in Loop: Header=BB12_158 Depth=2
	s_mul_i32 s28, s25, s35
	s_mul_hi_u32 s29, s4, s35
	s_add_i32 s29, s29, s28
	s_mul_i32 s28, s4, s35
	v_lshl_add_u64 v[10:11], v[6:7], 0, s[28:29]
	flat_load_dwordx2 v[12:13], v[10:11]
	ds_read_b64 v[10:11], v1
                                        ; implicit-def: $vgpr14_vgpr15
	s_waitcnt vmcnt(0) lgkmcnt(0)
	v_cmp_ngt_f32_e64 s[28:29], |v12|, |v13|
	s_and_saveexec_b64 s[38:39], s[28:29]
	s_xor_b64 s[28:29], exec, s[38:39]
	s_cbranch_execz .LBB12_162
; %bb.161:                              ;   in Loop: Header=BB12_158 Depth=2
	v_div_scale_f32 v4, s[38:39], v13, v13, v12
	v_rcp_f32_e32 v14, v4
	v_div_scale_f32 v15, vcc, v12, v13, v12
	v_fma_f32 v18, -v4, v14, 1.0
	v_fmac_f32_e32 v14, v18, v14
	v_mul_f32_e32 v18, v15, v14
	v_fma_f32 v19, -v4, v18, v15
	v_fmac_f32_e32 v18, v19, v14
	v_fma_f32 v4, -v4, v18, v15
	v_div_fmas_f32 v4, v4, v14, v18
	v_div_fixup_f32 v4, v4, v13, v12
	v_fmac_f32_e32 v13, v12, v4
	v_div_scale_f32 v12, s[38:39], v13, v13, 1.0
	v_rcp_f32_e32 v14, v12
	s_nop 0
	v_fma_f32 v15, -v12, v14, 1.0
	v_fmac_f32_e32 v14, v15, v14
	v_div_scale_f32 v15, vcc, 1.0, v13, 1.0
	v_mul_f32_e32 v18, v15, v14
	v_fma_f32 v19, -v12, v18, v15
	v_fmac_f32_e32 v18, v19, v14
	v_fma_f32 v12, -v12, v18, v15
	v_div_fmas_f32 v12, v12, v14, v18
	v_pk_fma_f32 v[14:15], v[4:5], v[10:11], v[10:11] op_sel:[0,0,1] op_sel_hi:[1,1,0]
	v_pk_fma_f32 v[10:11], v[4:5], v[10:11], v[10:11] op_sel:[0,0,1] op_sel_hi:[0,1,0] neg_lo:[0,0,1] neg_hi:[0,0,1]
	v_div_fixup_f32 v12, v12, v13, 1.0
	v_mov_b32_e32 v15, v11
	v_pk_mul_f32 v[14:15], v[12:13], v[14:15] op_sel_hi:[0,1]
                                        ; implicit-def: $vgpr12_vgpr13
                                        ; implicit-def: $vgpr10_vgpr11
.LBB12_162:                             ;   in Loop: Header=BB12_158 Depth=2
	s_andn2_saveexec_b64 s[28:29], s[28:29]
	s_cbranch_execz .LBB12_164
; %bb.163:                              ;   in Loop: Header=BB12_158 Depth=2
	v_div_scale_f32 v4, s[38:39], v12, v12, v13
	v_rcp_f32_e32 v14, v4
	v_div_scale_f32 v15, vcc, v13, v12, v13
	v_fma_f32 v18, -v4, v14, 1.0
	v_fmac_f32_e32 v14, v18, v14
	v_mul_f32_e32 v18, v15, v14
	v_fma_f32 v19, -v4, v18, v15
	v_fmac_f32_e32 v18, v19, v14
	v_fma_f32 v4, -v4, v18, v15
	v_div_fmas_f32 v4, v4, v14, v18
	v_div_fixup_f32 v4, v4, v12, v13
	v_fmac_f32_e32 v12, v13, v4
	v_div_scale_f32 v13, s[38:39], v12, v12, 1.0
	v_rcp_f32_e32 v14, v13
	s_nop 0
	v_fma_f32 v15, -v13, v14, 1.0
	v_fmac_f32_e32 v14, v15, v14
	v_div_scale_f32 v15, vcc, 1.0, v12, 1.0
	v_mul_f32_e32 v18, v15, v14
	v_fma_f32 v19, -v13, v18, v15
	v_fmac_f32_e32 v18, v19, v14
	v_fma_f32 v13, -v13, v18, v15
	v_div_fmas_f32 v13, v13, v14, v18
	v_pk_fma_f32 v[14:15], v[4:5], v[10:11], v[10:11] op_sel:[0,1,0] op_sel_hi:[1,0,1]
	v_pk_fma_f32 v[10:11], v[4:5], v[10:11], v[10:11] op_sel:[0,1,0] op_sel_hi:[0,0,1] neg_lo:[1,0,0] neg_hi:[1,0,0]
	v_div_fixup_f32 v12, v13, v12, 1.0
	v_mov_b32_e32 v15, v11
	v_pk_mul_f32 v[14:15], v[12:13], v[14:15] op_sel_hi:[0,1]
.LBB12_164:                             ;   in Loop: Header=BB12_158 Depth=2
	s_or_b64 exec, exec, s[28:29]
	ds_write_b64 v1, v[14:15]
.LBB12_165:                             ;   in Loop: Header=BB12_158 Depth=2
	s_or_b64 exec, exec, s[2:3]
	v_cmp_gt_u32_e32 vcc, s31, v0
	v_cmp_le_i32_e64 s[2:3], s36, v3
	s_and_b64 s[28:29], s[20:21], vcc
	s_and_b64 s[28:29], s[28:29], s[2:3]
	s_waitcnt lgkmcnt(0)
	s_barrier
	s_and_saveexec_b64 s[2:3], s[28:29]
	s_cbranch_execz .LBB12_156
; %bb.166:                              ;   in Loop: Header=BB12_158 Depth=2
	v_mov_b32_e32 v4, s35
	v_mad_u64_u32 v[10:11], s[28:29], s26, v4, v[8:9]
	s_mul_i32 s28, s27, s35
	s_nop 0
	v_add_u32_e32 v11, s28, v11
	flat_load_dwordx2 v[10:11], v[10:11]
	v_mov_b32_e32 v4, s34
	ds_read_b64 v[12:13], v4
	ds_read_b64 v[14:15], v1
	s_waitcnt vmcnt(0) lgkmcnt(0)
	v_pk_mul_f32 v[18:19], v[12:13], v[10:11] op_sel:[1,1] op_sel_hi:[0,1]
	v_pk_fma_f32 v[20:21], v[12:13], v[10:11], v[18:19] neg_lo:[0,0,1] neg_hi:[0,0,1]
	v_pk_fma_f32 v[10:11], v[12:13], v[10:11], v[18:19] op_sel_hi:[1,0,1]
	s_nop 0
	v_mov_b32_e32 v21, v11
	v_pk_add_f32 v[10:11], v[14:15], v[20:21] neg_lo:[0,1] neg_hi:[0,1]
	ds_write_b64 v1, v[10:11]
	s_branch .LBB12_156
.LBB12_167:                             ;   in Loop: Header=BB12_153 Depth=1
	s_add_i32 s43, s30, 0xfffffe00
	s_cmp_lt_i32 s30, 1
	s_cselect_b64 s[2:3], -1, 0
	s_and_b64 vcc, exec, s[2:3]
	s_waitcnt lgkmcnt(0)
	s_barrier
	s_cbranch_vccnz .LBB12_187
; %bb.168:                              ;   in Loop: Header=BB12_153 Depth=1
	s_mul_i32 s20, s27, s30
	s_mul_hi_u32 s21, s26, s30
	s_add_i32 s21, s21, s20
	s_mul_i32 s20, s26, s30
	s_add_u32 s20, s7, s20
	s_addc_u32 s21, s42, s21
	s_mov_b64 s[28:29], 0
	v_mov_b32_e32 v6, v16
	v_mov_b32_e32 v3, v0
	s_mov_b32 s44, s43
                                        ; implicit-def: $sgpr30_sgpr31
	s_branch .LBB12_171
.LBB12_169:                             ;   in Loop: Header=BB12_171 Depth=2
	v_mad_u64_u32 v[10:11], s[36:37], s8, v4, 0
	v_mov_b32_e32 v12, v11
	v_mad_u64_u32 v[12:13], s[36:37], s9, v4, v[12:13]
	v_mov_b32_e32 v11, v12
	v_lshl_add_u64 v[10:11], v[10:11], 3, s[16:17]
	flat_load_dwordx2 v[12:13], v[10:11]
	s_add_i32 s38, s44, 0xfffffe00
	s_cmp_lt_i32 s44, 1
	s_cselect_b64 s[36:37], -1, 0
	s_andn2_b64 s[30:31], s[30:31], exec
	s_and_b64 s[36:37], s[36:37], exec
	v_add_u32_e32 v6, 0xfffffe00, v6
	s_or_b64 s[30:31], s[30:31], s[36:37]
	s_mov_b32 s44, s38
	s_waitcnt vmcnt(0) lgkmcnt(0)
	v_pk_add_f32 v[8:9], v[12:13], v[8:9] neg_lo:[0,1] neg_hi:[0,1]
	flat_store_dwordx2 v[10:11], v[8:9]
.LBB12_170:                             ;   in Loop: Header=BB12_171 Depth=2
	s_or_b64 exec, exec, s[34:35]
	s_and_b64 s[34:35], exec, s[30:31]
	s_or_b64 s[28:29], s[34:35], s[28:29]
	s_andn2_b64 exec, exec, s[28:29]
	s_cbranch_execz .LBB12_186
.LBB12_171:                             ;   Parent Loop BB12_153 Depth=1
                                        ; =>  This Loop Header: Depth=2
                                        ;       Child Loop BB12_174 Depth 3
	v_add_u32_e32 v4, s44, v0
	v_cmp_lt_i32_e32 vcc, -1, v4
	s_or_b64 s[30:31], s[30:31], exec
	s_and_saveexec_b64 s[34:35], vcc
	s_cbranch_execz .LBB12_170
; %bb.172:                              ;   in Loop: Header=BB12_171 Depth=2
	v_mov_b32_e32 v7, v5
	v_lshl_add_u64 v[10:11], v[6:7], 3, s[20:21]
	v_lshl_add_u64 v[12:13], v[4:5], 3, s[14:15]
	v_add_u32_e32 v7, s6, v4
	v_add_u32_e32 v14, 0xfffffdff, v3
	v_add_u32_e32 v3, 0xfffffe00, v3
	v_mov_b32_e32 v8, v5
	v_mov_b32_e32 v9, v5
	s_mov_b32 s45, 0
	s_movk_i32 s46, 0x2000
	s_mov_b32 s36, s33
	s_branch .LBB12_174
.LBB12_173:                             ;   in Loop: Header=BB12_174 Depth=3
	s_or_b64 exec, exec, s[38:39]
	s_add_i32 s45, s45, 2
	s_add_i32 s46, s46, 16
	s_add_i32 s36, s36, -2
	s_cmpk_eq_i32 s45, 0x200
	v_lshl_add_u64 v[10:11], v[10:11], 0, s[10:11]
	s_cbranch_scc1 .LBB12_169
.LBB12_174:                             ;   Parent Loop BB12_153 Depth=1
                                        ;     Parent Loop BB12_171 Depth=2
                                        ; =>    This Inner Loop Header: Depth=3
	v_cmp_ne_u32_e32 vcc, s45, v3
	s_add_i32 s37, s5, s45
	s_or_b64 s[38:39], s[18:19], vcc
	s_and_saveexec_b64 s[40:41], s[38:39]
	s_xor_b64 s[38:39], exec, s[40:41]
	s_cbranch_execz .LBB12_178
; %bb.175:                              ;   in Loop: Header=BB12_174 Depth=3
	s_add_i32 s40, s37, 0xfffffe00
	v_cmp_le_i32_e32 vcc, s40, v7
	s_and_saveexec_b64 s[40:41], vcc
	s_cbranch_execz .LBB12_177
; %bb.176:                              ;   in Loop: Header=BB12_174 Depth=3
	flat_load_dwordx2 v[18:19], v[10:11]
	v_mov_b32_e32 v15, s46
	ds_read_b64 v[20:21], v15
	s_waitcnt vmcnt(0) lgkmcnt(0)
	v_pk_mul_f32 v[22:23], v[20:21], v[18:19] op_sel:[1,1] op_sel_hi:[0,1]
	v_pk_fma_f32 v[24:25], v[20:21], v[18:19], v[22:23] neg_lo:[0,0,1] neg_hi:[0,0,1]
	v_pk_fma_f32 v[18:19], v[20:21], v[18:19], v[22:23] op_sel_hi:[1,0,1]
	s_nop 0
	v_mov_b32_e32 v25, v19
	v_pk_add_f32 v[8:9], v[8:9], v[24:25]
.LBB12_177:                             ;   in Loop: Header=BB12_174 Depth=3
	s_or_b64 exec, exec, s[40:41]
.LBB12_178:                             ;   in Loop: Header=BB12_174 Depth=3
	s_andn2_saveexec_b64 s[38:39], s[38:39]
	s_cbranch_execz .LBB12_180
; %bb.179:                              ;   in Loop: Header=BB12_174 Depth=3
	v_mov_b32_e32 v15, s46
	ds_read_b64 v[18:19], v15
	s_waitcnt lgkmcnt(0)
	v_pk_add_f32 v[8:9], v[8:9], v[18:19]
.LBB12_180:                             ;   in Loop: Header=BB12_174 Depth=3
	s_or_b64 exec, exec, s[38:39]
	v_cmp_ne_u32_e32 vcc, s45, v14
	s_or_b64 s[38:39], s[18:19], vcc
	s_and_saveexec_b64 s[40:41], s[38:39]
	s_xor_b64 s[38:39], exec, s[40:41]
	s_cbranch_execz .LBB12_184
; %bb.181:                              ;   in Loop: Header=BB12_174 Depth=3
	s_addk_i32 s37, 0xfe01
	v_cmp_le_i32_e32 vcc, s37, v7
	s_and_saveexec_b64 s[40:41], vcc
	s_cbranch_execz .LBB12_183
; %bb.182:                              ;   in Loop: Header=BB12_174 Depth=3
	s_mul_i32 s47, s13, s37
	s_mul_hi_u32 s48, s12, s37
	s_add_i32 s49, s48, s47
	s_mul_i32 s48, s12, s37
	s_ashr_i32 s37, s36, 31
	v_lshl_add_u64 v[18:19], s[48:49], 3, v[12:13]
	v_lshl_add_u64 v[18:19], s[36:37], 3, v[18:19]
	flat_load_dwordx2 v[18:19], v[18:19]
	v_mov_b32_e32 v15, s46
	ds_read_b64 v[20:21], v15 offset:8
	s_waitcnt vmcnt(0) lgkmcnt(0)
	v_pk_mul_f32 v[22:23], v[20:21], v[18:19] op_sel:[1,1] op_sel_hi:[0,1]
	v_pk_fma_f32 v[24:25], v[20:21], v[18:19], v[22:23] neg_lo:[0,0,1] neg_hi:[0,0,1]
	v_pk_fma_f32 v[18:19], v[20:21], v[18:19], v[22:23] op_sel_hi:[1,0,1]
	s_nop 0
	v_mov_b32_e32 v25, v19
	v_pk_add_f32 v[8:9], v[8:9], v[24:25]
.LBB12_183:                             ;   in Loop: Header=BB12_174 Depth=3
	s_or_b64 exec, exec, s[40:41]
.LBB12_184:                             ;   in Loop: Header=BB12_174 Depth=3
	s_andn2_saveexec_b64 s[38:39], s[38:39]
	s_cbranch_execz .LBB12_173
; %bb.185:                              ;   in Loop: Header=BB12_174 Depth=3
	v_mov_b32_e32 v15, s46
	ds_read_b64 v[18:19], v15 offset:8
	s_waitcnt lgkmcnt(0)
	v_pk_add_f32 v[8:9], v[8:9], v[18:19]
	s_branch .LBB12_173
.LBB12_186:                             ;   in Loop: Header=BB12_153 Depth=1
	s_or_b64 exec, exec, s[28:29]
.LBB12_187:                             ;   in Loop: Header=BB12_153 Depth=1
	s_and_saveexec_b64 s[20:21], s[0:1]
	s_cbranch_execz .LBB12_152
; %bb.188:                              ;   in Loop: Header=BB12_153 Depth=1
	v_mad_u64_u32 v[6:7], s[0:1], s8, v17, 0
	ds_read_b64 v[8:9], v1
	v_mov_b32_e32 v4, v7
	v_mad_u64_u32 v[10:11], s[0:1], s9, v17, v[4:5]
	v_mov_b32_e32 v7, v10
	v_lshl_add_u64 v[6:7], v[6:7], 3, s[16:17]
	s_waitcnt lgkmcnt(0)
	flat_store_dwordx2 v[6:7], v[8:9]
	s_branch .LBB12_152
.LBB12_189:
	s_endpgm
	.section	.rodata,"a",@progbits
	.p2align	6, 0x0
	.amdhsa_kernel _ZL19rocblas_tbsv_kernelILb1ELi512EPKPK19rocblas_complex_numIfEPKPS1_Ev18rocblas_operation_bbiiT1_lllT2_lll
		.amdhsa_group_segment_fixed_size 16384
		.amdhsa_private_segment_fixed_size 0
		.amdhsa_kernarg_size 80
		.amdhsa_user_sgpr_count 2
		.amdhsa_user_sgpr_dispatch_ptr 0
		.amdhsa_user_sgpr_queue_ptr 0
		.amdhsa_user_sgpr_kernarg_segment_ptr 1
		.amdhsa_user_sgpr_dispatch_id 0
		.amdhsa_user_sgpr_kernarg_preload_length 0
		.amdhsa_user_sgpr_kernarg_preload_offset 0
		.amdhsa_user_sgpr_private_segment_size 0
		.amdhsa_uses_dynamic_stack 0
		.amdhsa_enable_private_segment 0
		.amdhsa_system_sgpr_workgroup_id_x 1
		.amdhsa_system_sgpr_workgroup_id_y 0
		.amdhsa_system_sgpr_workgroup_id_z 0
		.amdhsa_system_sgpr_workgroup_info 0
		.amdhsa_system_vgpr_workitem_id 0
		.amdhsa_next_free_vgpr 30
		.amdhsa_next_free_sgpr 68
		.amdhsa_accum_offset 32
		.amdhsa_reserve_vcc 1
		.amdhsa_float_round_mode_32 0
		.amdhsa_float_round_mode_16_64 0
		.amdhsa_float_denorm_mode_32 3
		.amdhsa_float_denorm_mode_16_64 3
		.amdhsa_dx10_clamp 1
		.amdhsa_ieee_mode 1
		.amdhsa_fp16_overflow 0
		.amdhsa_tg_split 0
		.amdhsa_exception_fp_ieee_invalid_op 0
		.amdhsa_exception_fp_denorm_src 0
		.amdhsa_exception_fp_ieee_div_zero 0
		.amdhsa_exception_fp_ieee_overflow 0
		.amdhsa_exception_fp_ieee_underflow 0
		.amdhsa_exception_fp_ieee_inexact 0
		.amdhsa_exception_int_div_zero 0
	.end_amdhsa_kernel
	.section	.text._ZL19rocblas_tbsv_kernelILb1ELi512EPKPK19rocblas_complex_numIfEPKPS1_Ev18rocblas_operation_bbiiT1_lllT2_lll,"axG",@progbits,_ZL19rocblas_tbsv_kernelILb1ELi512EPKPK19rocblas_complex_numIfEPKPS1_Ev18rocblas_operation_bbiiT1_lllT2_lll,comdat
.Lfunc_end12:
	.size	_ZL19rocblas_tbsv_kernelILb1ELi512EPKPK19rocblas_complex_numIfEPKPS1_Ev18rocblas_operation_bbiiT1_lllT2_lll, .Lfunc_end12-_ZL19rocblas_tbsv_kernelILb1ELi512EPKPK19rocblas_complex_numIfEPKPS1_Ev18rocblas_operation_bbiiT1_lllT2_lll
                                        ; -- End function
	.set _ZL19rocblas_tbsv_kernelILb1ELi512EPKPK19rocblas_complex_numIfEPKPS1_Ev18rocblas_operation_bbiiT1_lllT2_lll.num_vgpr, 30
	.set _ZL19rocblas_tbsv_kernelILb1ELi512EPKPK19rocblas_complex_numIfEPKPS1_Ev18rocblas_operation_bbiiT1_lllT2_lll.num_agpr, 0
	.set _ZL19rocblas_tbsv_kernelILb1ELi512EPKPK19rocblas_complex_numIfEPKPS1_Ev18rocblas_operation_bbiiT1_lllT2_lll.numbered_sgpr, 68
	.set _ZL19rocblas_tbsv_kernelILb1ELi512EPKPK19rocblas_complex_numIfEPKPS1_Ev18rocblas_operation_bbiiT1_lllT2_lll.num_named_barrier, 0
	.set _ZL19rocblas_tbsv_kernelILb1ELi512EPKPK19rocblas_complex_numIfEPKPS1_Ev18rocblas_operation_bbiiT1_lllT2_lll.private_seg_size, 0
	.set _ZL19rocblas_tbsv_kernelILb1ELi512EPKPK19rocblas_complex_numIfEPKPS1_Ev18rocblas_operation_bbiiT1_lllT2_lll.uses_vcc, 1
	.set _ZL19rocblas_tbsv_kernelILb1ELi512EPKPK19rocblas_complex_numIfEPKPS1_Ev18rocblas_operation_bbiiT1_lllT2_lll.uses_flat_scratch, 0
	.set _ZL19rocblas_tbsv_kernelILb1ELi512EPKPK19rocblas_complex_numIfEPKPS1_Ev18rocblas_operation_bbiiT1_lllT2_lll.has_dyn_sized_stack, 0
	.set _ZL19rocblas_tbsv_kernelILb1ELi512EPKPK19rocblas_complex_numIfEPKPS1_Ev18rocblas_operation_bbiiT1_lllT2_lll.has_recursion, 0
	.set _ZL19rocblas_tbsv_kernelILb1ELi512EPKPK19rocblas_complex_numIfEPKPS1_Ev18rocblas_operation_bbiiT1_lllT2_lll.has_indirect_call, 0
	.section	.AMDGPU.csdata,"",@progbits
; Kernel info:
; codeLenInByte = 7508
; TotalNumSgprs: 74
; NumVgprs: 30
; NumAgprs: 0
; TotalNumVgprs: 30
; ScratchSize: 0
; MemoryBound: 0
; FloatMode: 240
; IeeeMode: 1
; LDSByteSize: 16384 bytes/workgroup (compile time only)
; SGPRBlocks: 9
; VGPRBlocks: 3
; NumSGPRsForWavesPerEU: 74
; NumVGPRsForWavesPerEU: 30
; AccumOffset: 32
; Occupancy: 8
; WaveLimiterHint : 1
; COMPUTE_PGM_RSRC2:SCRATCH_EN: 0
; COMPUTE_PGM_RSRC2:USER_SGPR: 2
; COMPUTE_PGM_RSRC2:TRAP_HANDLER: 0
; COMPUTE_PGM_RSRC2:TGID_X_EN: 1
; COMPUTE_PGM_RSRC2:TGID_Y_EN: 0
; COMPUTE_PGM_RSRC2:TGID_Z_EN: 0
; COMPUTE_PGM_RSRC2:TIDIG_COMP_CNT: 0
; COMPUTE_PGM_RSRC3_GFX90A:ACCUM_OFFSET: 7
; COMPUTE_PGM_RSRC3_GFX90A:TG_SPLIT: 0
	.section	.text._ZL19rocblas_tbsv_kernelILb0ELi512EPKPK19rocblas_complex_numIfEPKPS1_Ev18rocblas_operation_bbiiT1_lllT2_lll,"axG",@progbits,_ZL19rocblas_tbsv_kernelILb0ELi512EPKPK19rocblas_complex_numIfEPKPS1_Ev18rocblas_operation_bbiiT1_lllT2_lll,comdat
	.globl	_ZL19rocblas_tbsv_kernelILb0ELi512EPKPK19rocblas_complex_numIfEPKPS1_Ev18rocblas_operation_bbiiT1_lllT2_lll ; -- Begin function _ZL19rocblas_tbsv_kernelILb0ELi512EPKPK19rocblas_complex_numIfEPKPS1_Ev18rocblas_operation_bbiiT1_lllT2_lll
	.p2align	8
	.type	_ZL19rocblas_tbsv_kernelILb0ELi512EPKPK19rocblas_complex_numIfEPKPS1_Ev18rocblas_operation_bbiiT1_lllT2_lll,@function
_ZL19rocblas_tbsv_kernelILb0ELi512EPKPK19rocblas_complex_numIfEPKPS1_Ev18rocblas_operation_bbiiT1_lllT2_lll: ; @_ZL19rocblas_tbsv_kernelILb0ELi512EPKPK19rocblas_complex_numIfEPKPS1_Ev18rocblas_operation_bbiiT1_lllT2_lll
; %bb.0:
	s_load_dwordx2 s[34:35], s[0:1], 0x0
	s_load_dwordx4 s[4:7], s[0:1], 0x4
	s_load_dwordx4 s[8:11], s[0:1], 0x10
	s_load_dwordx2 s[12:13], s[0:1], 0x20
	s_mov_b32 s3, 0
	s_waitcnt lgkmcnt(0)
	s_bitcmp1_b32 s35, 0
	s_cselect_b64 s[14:15], -1, 0
	s_xor_b64 s[26:27], s[14:15], -1
	s_bitcmp1_b32 s4, 8
	s_cselect_b64 s[18:19], -1, 0
	s_lshl_b64 s[2:3], s[2:3], 3
	s_add_u32 s14, s8, s2
	s_addc_u32 s15, s9, s3
	s_load_dwordx2 s[20:21], s[14:15], 0x0
	s_load_dwordx4 s[28:31], s[0:1], 0x30
	s_load_dwordx2 s[8:9], s[0:1], 0x40
	s_lshl_b64 s[22:23], s[10:11], 3
	s_waitcnt lgkmcnt(0)
	s_add_u32 s14, s20, s22
	s_addc_u32 s15, s21, s23
	s_add_u32 s0, s28, s2
	s_addc_u32 s1, s29, s3
	s_load_dwordx2 s[0:1], s[0:1], 0x0
	s_lshl_b64 s[2:3], s[30:31], 3
	s_waitcnt lgkmcnt(0)
	s_add_u32 s16, s0, s2
	s_addc_u32 s17, s1, s3
	s_cmp_gt_i32 s5, 0
	s_cselect_b64 s[24:25], -1, 0
	s_cmpk_lg_i32 s34, 0x6f
	s_mov_b64 s[0:1], -1
	s_cbranch_scc0 .LBB13_107
; %bb.1:
	s_and_b64 vcc, exec, s[26:27]
	s_cbranch_vccz .LBB13_54
; %bb.2:
	s_andn2_b64 vcc, exec, s[24:25]
	s_cbranch_vccnz .LBB13_53
; %bb.3:
	s_ashr_i32 s1, s5, 31
	s_mov_b32 s0, s5
	s_add_i32 s42, s5, 0xfffffe00
	s_add_i32 s4, s5, -1
	s_lshl_b64 s[0:1], s[0:1], 3
	s_add_u32 s0, s22, s0
	s_addc_u32 s1, s23, s1
	s_add_u32 s0, s20, s0
	s_addc_u32 s1, s21, s1
	v_mov_b32_e32 v1, 0x3000
	s_add_u32 s28, s0, 0xfffff000
	v_add_u32_e32 v2, s5, v0
	v_lshl_or_b32 v1, v0, 3, v1
	v_sub_u32_e32 v12, 0, v0
	s_addc_u32 s29, s1, -1
	v_add_u32_e32 v13, 0xfffffc00, v2
	s_lshl_b64 s[30:31], s[12:13], 3
	s_xor_b64 s[34:35], s[18:19], -1
	v_mov_b32_e32 v3, 0
	s_mov_b64 s[36:37], 0x1000
	s_mov_b32 s7, s5
	s_branch .LBB13_5
.LBB13_4:                               ;   in Loop: Header=BB13_5 Depth=1
	s_or_b64 exec, exec, s[38:39]
	s_addk_i32 s4, 0xfe00
	s_addk_i32 s7, 0xfe00
	s_add_u32 s28, s28, 0xfffff000
	s_addc_u32 s29, s29, -1
	v_add_u32_e32 v13, 0xfffffe00, v13
	s_andn2_b64 vcc, exec, s[2:3]
	s_mov_b32 s42, s33
	s_waitcnt lgkmcnt(0)
	s_barrier
	s_cbranch_vccz .LBB13_53
.LBB13_5:                               ; =>This Loop Header: Depth=1
                                        ;     Child Loop BB13_10 Depth 2
                                        ;     Child Loop BB13_23 Depth 2
                                        ;       Child Loop BB13_26 Depth 3
	v_add_u32_e32 v14, s42, v0
	v_cmp_gt_i32_e32 vcc, 0, v14
	v_cmp_lt_i32_e64 s[0:1], -1, v14
	s_and_saveexec_b64 s[2:3], s[0:1]
	s_cbranch_execz .LBB13_7
; %bb.6:                                ;   in Loop: Header=BB13_5 Depth=1
	v_mad_u64_u32 v[4:5], s[38:39], s8, v14, 0
	v_mov_b32_e32 v2, v5
	v_mad_u64_u32 v[6:7], s[38:39], s9, v14, v[2:3]
	v_mov_b32_e32 v5, v6
	v_lshl_add_u64 v[4:5], v[4:5], 3, s[16:17]
	flat_load_dwordx2 v[4:5], v[4:5]
	s_waitcnt vmcnt(0) lgkmcnt(0)
	ds_write_b64 v1, v[4:5]
.LBB13_7:                               ;   in Loop: Header=BB13_5 Depth=1
	s_or_b64 exec, exec, s[2:3]
	v_ashrrev_i32_e32 v2, 31, v14
	v_mul_lo_u32 v6, s13, v14
	v_mul_lo_u32 v2, s12, v2
	v_mad_u64_u32 v[4:5], s[2:3], s12, v14, 0
	v_add3_u32 v5, v5, v2, v6
	v_add_u32_e32 v15, s6, v14
	v_lshl_add_u64 v[4:5], v[4:5], 3, s[14:15]
	s_movk_i32 s33, 0x1ff
	s_movk_i32 s43, 0x3ff8
	s_xor_b64 s[38:39], vcc, -1
	s_waitcnt lgkmcnt(0)
	s_barrier
	s_branch .LBB13_10
.LBB13_8:                               ;   in Loop: Header=BB13_10 Depth=2
	s_or_b64 exec, exec, s[2:3]
	s_add_i32 s33, s33, -1
	s_add_i32 s43, s43, -8
	s_cmp_eq_u32 s33, -1
	s_cselect_b64 s[2:3], -1, 0
.LBB13_9:                               ;   in Loop: Header=BB13_10 Depth=2
	s_and_b64 vcc, exec, s[2:3]
	s_cbranch_vccnz .LBB13_19
.LBB13_10:                              ;   Parent Loop BB13_5 Depth=1
                                        ; =>  This Inner Loop Header: Depth=2
	s_add_i32 s44, s4, s33
	s_addk_i32 s44, 0xfe01
	s_cmp_lt_i32 s44, 0
	s_mov_b64 s[2:3], -1
	s_cbranch_scc1 .LBB13_9
; %bb.11:                               ;   in Loop: Header=BB13_10 Depth=2
	v_add_u32_e32 v2, s33, v12
	v_cmp_eq_u32_e32 vcc, 0, v2
	s_and_b64 s[40:41], s[34:35], vcc
	s_and_saveexec_b64 s[2:3], s[40:41]
	s_cbranch_execz .LBB13_17
; %bb.12:                               ;   in Loop: Header=BB13_10 Depth=2
	s_mul_i32 s40, s13, s44
	s_mul_hi_u32 s41, s12, s44
	s_add_i32 s41, s41, s40
	s_mul_i32 s40, s12, s44
	s_lshl_b64 s[40:41], s[40:41], 3
	s_add_u32 s40, s14, s40
	s_addc_u32 s41, s15, s41
	v_mov_b64_e32 v[6:7], s[40:41]
	flat_load_dwordx2 v[8:9], v[6:7]
	ds_read_b64 v[6:7], v1
                                        ; implicit-def: $vgpr10_vgpr11
	s_waitcnt vmcnt(0) lgkmcnt(0)
	v_cmp_ngt_f32_e64 s[40:41], |v8|, |v9|
	s_and_saveexec_b64 s[46:47], s[40:41]
	s_xor_b64 s[40:41], exec, s[46:47]
	s_cbranch_execz .LBB13_14
; %bb.13:                               ;   in Loop: Header=BB13_10 Depth=2
	v_div_scale_f32 v10, s[46:47], v9, v9, v8
	v_rcp_f32_e32 v11, v10
	v_div_scale_f32 v16, vcc, v8, v9, v8
	v_fma_f32 v17, -v10, v11, 1.0
	v_fmac_f32_e32 v11, v17, v11
	v_mul_f32_e32 v17, v16, v11
	v_fma_f32 v18, -v10, v17, v16
	v_fmac_f32_e32 v17, v18, v11
	v_fma_f32 v10, -v10, v17, v16
	v_div_fmas_f32 v10, v10, v11, v17
	v_div_fixup_f32 v10, v10, v9, v8
	v_fmac_f32_e32 v9, v8, v10
	v_div_scale_f32 v8, s[46:47], v9, v9, 1.0
	v_rcp_f32_e32 v11, v8
	s_nop 0
	v_fma_f32 v16, -v8, v11, 1.0
	v_fmac_f32_e32 v11, v16, v11
	v_div_scale_f32 v16, vcc, 1.0, v9, 1.0
	v_mul_f32_e32 v17, v16, v11
	v_fma_f32 v18, -v8, v17, v16
	v_fmac_f32_e32 v17, v18, v11
	v_fma_f32 v8, -v8, v17, v16
	v_div_fmas_f32 v8, v8, v11, v17
	v_pk_fma_f32 v[16:17], v[10:11], v[6:7], v[6:7] op_sel:[0,0,1] op_sel_hi:[1,1,0]
	v_pk_fma_f32 v[6:7], v[10:11], v[6:7], v[6:7] op_sel:[0,0,1] op_sel_hi:[0,1,0] neg_lo:[0,0,1] neg_hi:[0,0,1]
	v_div_fixup_f32 v8, v8, v9, 1.0
	v_mov_b32_e32 v17, v7
	v_pk_mul_f32 v[10:11], v[8:9], v[16:17] op_sel_hi:[0,1]
                                        ; implicit-def: $vgpr8_vgpr9
                                        ; implicit-def: $vgpr6_vgpr7
.LBB13_14:                              ;   in Loop: Header=BB13_10 Depth=2
	s_andn2_saveexec_b64 s[40:41], s[40:41]
	s_cbranch_execz .LBB13_16
; %bb.15:                               ;   in Loop: Header=BB13_10 Depth=2
	v_div_scale_f32 v10, s[46:47], v8, v8, v9
	v_rcp_f32_e32 v11, v10
	v_div_scale_f32 v16, vcc, v9, v8, v9
	v_fma_f32 v17, -v10, v11, 1.0
	v_fmac_f32_e32 v11, v17, v11
	v_mul_f32_e32 v17, v16, v11
	v_fma_f32 v18, -v10, v17, v16
	v_fmac_f32_e32 v17, v18, v11
	v_fma_f32 v10, -v10, v17, v16
	v_div_fmas_f32 v10, v10, v11, v17
	v_div_fixup_f32 v10, v10, v8, v9
	v_fmac_f32_e32 v8, v9, v10
	v_div_scale_f32 v9, s[46:47], v8, v8, 1.0
	v_rcp_f32_e32 v11, v9
	s_nop 0
	v_fma_f32 v16, -v9, v11, 1.0
	v_fmac_f32_e32 v11, v16, v11
	v_div_scale_f32 v16, vcc, 1.0, v8, 1.0
	v_mul_f32_e32 v17, v16, v11
	v_fma_f32 v18, -v9, v17, v16
	v_fmac_f32_e32 v17, v18, v11
	v_fma_f32 v9, -v9, v17, v16
	v_div_fmas_f32 v9, v9, v11, v17
	v_pk_fma_f32 v[16:17], v[10:11], v[6:7], v[6:7] op_sel:[0,1,0] op_sel_hi:[1,0,1]
	v_pk_fma_f32 v[6:7], v[10:11], v[6:7], v[6:7] op_sel:[0,1,0] op_sel_hi:[0,0,1] neg_lo:[1,0,0] neg_hi:[1,0,0]
	v_div_fixup_f32 v8, v9, v8, 1.0
	v_mov_b32_e32 v17, v7
	v_pk_mul_f32 v[10:11], v[8:9], v[16:17] op_sel_hi:[0,1]
.LBB13_16:                              ;   in Loop: Header=BB13_10 Depth=2
	s_or_b64 exec, exec, s[40:41]
	ds_write_b64 v1, v[10:11]
.LBB13_17:                              ;   in Loop: Header=BB13_10 Depth=2
	s_or_b64 exec, exec, s[2:3]
	v_cmp_gt_u32_e32 vcc, s33, v0
	v_cmp_le_i32_e64 s[2:3], s44, v15
	s_and_b64 s[40:41], s[38:39], vcc
	s_and_b64 s[40:41], s[40:41], s[2:3]
	s_waitcnt lgkmcnt(0)
	s_barrier
	s_and_saveexec_b64 s[2:3], s[40:41]
	s_cbranch_execz .LBB13_8
; %bb.18:                               ;   in Loop: Header=BB13_10 Depth=2
	v_lshl_add_u64 v[6:7], v[2:3], 3, v[4:5]
	flat_load_dwordx2 v[6:7], v[6:7]
	v_mov_b32_e32 v2, s43
	ds_read_b64 v[8:9], v2
	ds_read_b64 v[10:11], v1
	s_waitcnt vmcnt(0) lgkmcnt(0)
	v_pk_mul_f32 v[16:17], v[8:9], v[6:7] op_sel:[1,1] op_sel_hi:[0,1]
	v_pk_fma_f32 v[18:19], v[8:9], v[6:7], v[16:17] neg_lo:[0,0,1] neg_hi:[0,0,1]
	v_pk_fma_f32 v[6:7], v[8:9], v[6:7], v[16:17] op_sel_hi:[1,0,1]
	s_nop 0
	v_mov_b32_e32 v19, v7
	v_pk_add_f32 v[6:7], v[10:11], v[18:19] neg_lo:[0,1] neg_hi:[0,1]
	ds_write_b64 v1, v[6:7]
	s_branch .LBB13_8
.LBB13_19:                              ;   in Loop: Header=BB13_5 Depth=1
	s_add_i32 s33, s42, 0xfffffe00
	s_cmp_lt_i32 s42, 1
	s_cselect_b64 s[2:3], -1, 0
	s_and_b64 vcc, exec, s[2:3]
	s_waitcnt lgkmcnt(0)
	s_barrier
	s_cbranch_vccnz .LBB13_51
; %bb.20:                               ;   in Loop: Header=BB13_5 Depth=1
	v_mad_i64_i32 v[4:5], s[38:39], v13, -8, s[28:29]
	s_mov_b64 s[38:39], 0
	v_mov_b32_e32 v10, v13
	v_mov_b32_e32 v11, v0
	s_mov_b32 s48, s33
                                        ; implicit-def: $sgpr40_sgpr41
	s_branch .LBB13_23
.LBB13_21:                              ;   in Loop: Header=BB13_23 Depth=2
	v_mad_u64_u32 v[8:9], s[44:45], s8, v15, 0
	v_mov_b32_e32 v2, v9
	v_mad_u64_u32 v[16:17], s[44:45], s9, v15, v[2:3]
	v_mov_b32_e32 v9, v16
	v_lshl_add_u64 v[8:9], v[8:9], 3, s[16:17]
	flat_load_dwordx2 v[16:17], v[8:9]
	s_add_i32 s46, s48, 0xfffffe00
	s_cmp_lt_i32 s48, 1
	s_cselect_b64 s[44:45], -1, 0
	s_andn2_b64 s[40:41], s[40:41], exec
	s_and_b64 s[44:45], s[44:45], exec
	v_lshl_add_u64 v[4:5], v[4:5], 0, s[36:37]
	v_add_u32_e32 v10, 0xfffffe00, v10
	s_or_b64 s[40:41], s[40:41], s[44:45]
	s_mov_b32 s48, s46
	s_waitcnt vmcnt(0) lgkmcnt(0)
	v_pk_add_f32 v[6:7], v[16:17], v[6:7] neg_lo:[0,1] neg_hi:[0,1]
	flat_store_dwordx2 v[8:9], v[6:7]
.LBB13_22:                              ;   in Loop: Header=BB13_23 Depth=2
	s_or_b64 exec, exec, s[42:43]
	s_and_b64 s[42:43], exec, s[40:41]
	s_or_b64 s[38:39], s[42:43], s[38:39]
	s_andn2_b64 exec, exec, s[38:39]
	s_cbranch_execz .LBB13_50
.LBB13_23:                              ;   Parent Loop BB13_5 Depth=1
                                        ; =>  This Loop Header: Depth=2
                                        ;       Child Loop BB13_26 Depth 3
	v_add_u32_e32 v15, s48, v0
	v_cmp_lt_i32_e32 vcc, -1, v15
	s_or_b64 s[40:41], s[40:41], exec
	s_and_saveexec_b64 s[42:43], vcc
	s_cbranch_execz .LBB13_22
; %bb.24:                               ;   in Loop: Header=BB13_23 Depth=2
	v_mad_u64_u32 v[8:9], s[44:45], s30, v10, v[4:5]
	v_mov_b32_e32 v2, v9
	v_mad_u64_u32 v[6:7], s[44:45], s31, v10, v[2:3]
	v_mov_b32_e32 v2, v3
	v_mov_b32_e32 v9, v6
	v_add_u32_e32 v16, s6, v15
	v_add_u32_e32 v17, 0xfffffdfd, v11
	;; [unrolled: 1-line block ×5, first 2 shown]
	s_mov_b32 s49, 0
	s_movk_i32 s50, 0x3000
	v_mov_b64_e32 v[6:7], v[2:3]
	s_branch .LBB13_26
.LBB13_25:                              ;   in Loop: Header=BB13_26 Depth=3
	s_or_b64 exec, exec, s[44:45]
	s_add_i32 s49, s49, 4
	s_add_i32 s50, s50, 32
	s_cmpk_eq_i32 s49, 0x200
	v_lshl_add_u64 v[8:9], v[8:9], 0, 32
	s_cbranch_scc1 .LBB13_21
.LBB13_26:                              ;   Parent Loop BB13_5 Depth=1
                                        ;     Parent Loop BB13_23 Depth=2
                                        ; =>    This Inner Loop Header: Depth=3
	v_cmp_ne_u32_e32 vcc, s49, v11
	s_add_i32 s51, s7, s49
	s_or_b64 s[44:45], s[34:35], vcc
	s_and_saveexec_b64 s[46:47], s[44:45]
	s_xor_b64 s[44:45], exec, s[46:47]
	s_cbranch_execz .LBB13_30
; %bb.27:                               ;   in Loop: Header=BB13_26 Depth=3
	s_add_i32 s46, s51, 0xfffffe00
	v_cmp_le_i32_e32 vcc, s46, v16
	s_and_saveexec_b64 s[46:47], vcc
	s_cbranch_execz .LBB13_29
; %bb.28:                               ;   in Loop: Header=BB13_26 Depth=3
	flat_load_dwordx2 v[20:21], v[8:9]
	v_mov_b32_e32 v2, s50
	ds_read_b64 v[22:23], v2
	s_waitcnt vmcnt(0) lgkmcnt(0)
	v_pk_mul_f32 v[24:25], v[22:23], v[20:21] op_sel:[1,1] op_sel_hi:[0,1]
	v_pk_fma_f32 v[26:27], v[22:23], v[20:21], v[24:25] neg_lo:[0,0,1] neg_hi:[0,0,1]
	v_pk_fma_f32 v[20:21], v[22:23], v[20:21], v[24:25] op_sel_hi:[1,0,1]
	s_nop 0
	v_mov_b32_e32 v27, v21
	v_pk_add_f32 v[6:7], v[6:7], v[26:27]
.LBB13_29:                              ;   in Loop: Header=BB13_26 Depth=3
	s_or_b64 exec, exec, s[46:47]
.LBB13_30:                              ;   in Loop: Header=BB13_26 Depth=3
	s_andn2_saveexec_b64 s[44:45], s[44:45]
	s_cbranch_execz .LBB13_32
; %bb.31:                               ;   in Loop: Header=BB13_26 Depth=3
	v_mov_b32_e32 v2, s50
	ds_read_b64 v[20:21], v2
	s_waitcnt lgkmcnt(0)
	v_pk_add_f32 v[6:7], v[6:7], v[20:21]
.LBB13_32:                              ;   in Loop: Header=BB13_26 Depth=3
	s_or_b64 exec, exec, s[44:45]
	v_cmp_ne_u32_e32 vcc, s49, v19
	s_or_b64 s[44:45], s[34:35], vcc
	s_and_saveexec_b64 s[46:47], s[44:45]
	s_xor_b64 s[44:45], exec, s[46:47]
	s_cbranch_execz .LBB13_36
; %bb.33:                               ;   in Loop: Header=BB13_26 Depth=3
	s_add_i32 s46, s51, 0xfffffe01
	v_cmp_le_i32_e32 vcc, s46, v16
	s_and_saveexec_b64 s[46:47], vcc
	s_cbranch_execz .LBB13_35
; %bb.34:                               ;   in Loop: Header=BB13_26 Depth=3
	flat_load_dwordx2 v[20:21], v[8:9] offset:8
	v_mov_b32_e32 v2, s50
	ds_read_b64 v[22:23], v2 offset:8
	s_waitcnt vmcnt(0) lgkmcnt(0)
	v_pk_mul_f32 v[24:25], v[22:23], v[20:21] op_sel:[1,1] op_sel_hi:[0,1]
	v_pk_fma_f32 v[26:27], v[22:23], v[20:21], v[24:25] neg_lo:[0,0,1] neg_hi:[0,0,1]
	v_pk_fma_f32 v[20:21], v[22:23], v[20:21], v[24:25] op_sel_hi:[1,0,1]
	s_nop 0
	v_mov_b32_e32 v27, v21
	v_pk_add_f32 v[6:7], v[6:7], v[26:27]
.LBB13_35:                              ;   in Loop: Header=BB13_26 Depth=3
	s_or_b64 exec, exec, s[46:47]
.LBB13_36:                              ;   in Loop: Header=BB13_26 Depth=3
	s_andn2_saveexec_b64 s[44:45], s[44:45]
	s_cbranch_execz .LBB13_38
; %bb.37:                               ;   in Loop: Header=BB13_26 Depth=3
	v_mov_b32_e32 v2, s50
	ds_read_b64 v[20:21], v2 offset:8
	s_waitcnt lgkmcnt(0)
	v_pk_add_f32 v[6:7], v[6:7], v[20:21]
.LBB13_38:                              ;   in Loop: Header=BB13_26 Depth=3
	s_or_b64 exec, exec, s[44:45]
	v_cmp_ne_u32_e32 vcc, s49, v18
	s_or_b64 s[44:45], s[34:35], vcc
	s_and_saveexec_b64 s[46:47], s[44:45]
	s_xor_b64 s[44:45], exec, s[46:47]
	s_cbranch_execz .LBB13_42
; %bb.39:                               ;   in Loop: Header=BB13_26 Depth=3
	s_add_i32 s46, s51, 0xfffffe02
	v_cmp_le_i32_e32 vcc, s46, v16
	s_and_saveexec_b64 s[46:47], vcc
	s_cbranch_execz .LBB13_41
; %bb.40:                               ;   in Loop: Header=BB13_26 Depth=3
	flat_load_dwordx2 v[20:21], v[8:9] offset:16
	v_mov_b32_e32 v2, s50
	ds_read_b64 v[22:23], v2 offset:16
	s_waitcnt vmcnt(0) lgkmcnt(0)
	v_pk_mul_f32 v[24:25], v[22:23], v[20:21] op_sel:[1,1] op_sel_hi:[0,1]
	v_pk_fma_f32 v[26:27], v[22:23], v[20:21], v[24:25] neg_lo:[0,0,1] neg_hi:[0,0,1]
	v_pk_fma_f32 v[20:21], v[22:23], v[20:21], v[24:25] op_sel_hi:[1,0,1]
	s_nop 0
	v_mov_b32_e32 v27, v21
	v_pk_add_f32 v[6:7], v[6:7], v[26:27]
.LBB13_41:                              ;   in Loop: Header=BB13_26 Depth=3
	s_or_b64 exec, exec, s[46:47]
.LBB13_42:                              ;   in Loop: Header=BB13_26 Depth=3
	s_andn2_saveexec_b64 s[44:45], s[44:45]
	s_cbranch_execz .LBB13_44
; %bb.43:                               ;   in Loop: Header=BB13_26 Depth=3
	v_mov_b32_e32 v2, s50
	ds_read_b64 v[20:21], v2 offset:16
	s_waitcnt lgkmcnt(0)
	v_pk_add_f32 v[6:7], v[6:7], v[20:21]
.LBB13_44:                              ;   in Loop: Header=BB13_26 Depth=3
	s_or_b64 exec, exec, s[44:45]
	v_cmp_ne_u32_e32 vcc, s49, v17
	s_or_b64 s[44:45], s[34:35], vcc
	s_and_saveexec_b64 s[46:47], s[44:45]
	s_xor_b64 s[44:45], exec, s[46:47]
	s_cbranch_execz .LBB13_48
; %bb.45:                               ;   in Loop: Header=BB13_26 Depth=3
	s_addk_i32 s51, 0xfe03
	v_cmp_le_i32_e32 vcc, s51, v16
	s_and_saveexec_b64 s[46:47], vcc
	s_cbranch_execz .LBB13_47
; %bb.46:                               ;   in Loop: Header=BB13_26 Depth=3
	flat_load_dwordx2 v[20:21], v[8:9] offset:24
	v_mov_b32_e32 v2, s50
	ds_read_b64 v[22:23], v2 offset:24
	s_waitcnt vmcnt(0) lgkmcnt(0)
	v_pk_mul_f32 v[24:25], v[22:23], v[20:21] op_sel:[1,1] op_sel_hi:[0,1]
	v_pk_fma_f32 v[26:27], v[22:23], v[20:21], v[24:25] neg_lo:[0,0,1] neg_hi:[0,0,1]
	v_pk_fma_f32 v[20:21], v[22:23], v[20:21], v[24:25] op_sel_hi:[1,0,1]
	s_nop 0
	v_mov_b32_e32 v27, v21
	v_pk_add_f32 v[6:7], v[6:7], v[26:27]
.LBB13_47:                              ;   in Loop: Header=BB13_26 Depth=3
	s_or_b64 exec, exec, s[46:47]
.LBB13_48:                              ;   in Loop: Header=BB13_26 Depth=3
	s_andn2_saveexec_b64 s[44:45], s[44:45]
	s_cbranch_execz .LBB13_25
; %bb.49:                               ;   in Loop: Header=BB13_26 Depth=3
	v_mov_b32_e32 v2, s50
	ds_read_b64 v[20:21], v2 offset:24
	s_waitcnt lgkmcnt(0)
	v_pk_add_f32 v[6:7], v[6:7], v[20:21]
	s_branch .LBB13_25
.LBB13_50:                              ;   in Loop: Header=BB13_5 Depth=1
	s_or_b64 exec, exec, s[38:39]
.LBB13_51:                              ;   in Loop: Header=BB13_5 Depth=1
	s_and_saveexec_b64 s[38:39], s[0:1]
	s_cbranch_execz .LBB13_4
; %bb.52:                               ;   in Loop: Header=BB13_5 Depth=1
	v_mad_u64_u32 v[4:5], s[0:1], s8, v14, 0
	ds_read_b64 v[6:7], v1
	v_mov_b32_e32 v2, v5
	v_mad_u64_u32 v[8:9], s[0:1], s9, v14, v[2:3]
	v_mov_b32_e32 v5, v8
	v_lshl_add_u64 v[4:5], v[4:5], 3, s[16:17]
	s_waitcnt lgkmcnt(0)
	flat_store_dwordx2 v[4:5], v[6:7]
	s_branch .LBB13_4
.LBB13_53:
	s_mov_b64 s[0:1], 0
.LBB13_54:
	s_andn2_b64 vcc, exec, s[0:1]
	s_cbranch_vccnz .LBB13_106
; %bb.55:
	s_andn2_b64 vcc, exec, s[24:25]
	s_cbranch_vccnz .LBB13_106
; %bb.56:
	s_lshl_b64 s[28:29], s[12:13], 3
	s_add_u32 s4, s28, -8
	s_addc_u32 s33, s29, -1
	s_ashr_i32 s7, s6, 31
	s_lshl_b64 s[0:1], s[6:7], 3
	s_add_u32 s2, s20, s0
	s_addc_u32 s3, s21, s1
	s_add_u32 s2, s2, s22
	s_addc_u32 s3, s3, s23
	v_mov_b64_e32 v[2:3], s[2:3]
	v_mad_u64_u32 v[2:3], s[30:31], s4, v0, v[2:3]
	v_mov_b32_e32 v4, v3
	v_mad_u64_u32 v[4:5], s[30:31], s33, v0, v[4:5]
	s_lshl_b64 s[30:31], s[12:13], 12
	s_add_u32 s0, s22, s0
	s_addc_u32 s1, s23, s1
	s_add_u32 s34, s20, s0
	v_or_b32_e32 v18, 0x200, v0
	v_mov_b32_e32 v3, v4
	s_addc_u32 s35, s21, s1
	v_mad_u64_u32 v[4:5], s[0:1], s12, v18, 0
	v_mov_b32_e32 v6, v5
	s_add_u32 s36, s30, 0x1000
	v_mad_u64_u32 v[6:7], s[0:1], s13, v18, v[6:7]
	s_addc_u32 s37, s31, 0
	v_mov_b32_e32 v1, 0x1000
	v_mov_b32_e32 v5, v6
	s_add_u32 s38, s30, 0xfffff000
	v_lshl_or_b32 v1, v0, 3, v1
	v_lshl_add_u64 v[4:5], v[4:5], 3, s[2:3]
	s_addc_u32 s39, s31, -1
	s_mov_b32 s4, 0
	s_xor_b64 s[40:41], s[18:19], -1
	v_mov_b32_e32 v6, 0
	s_branch .LBB13_58
.LBB13_57:                              ;   in Loop: Header=BB13_58 Depth=1
	s_or_b64 exec, exec, s[42:43]
	s_add_u32 s34, s34, s30
	v_lshl_add_u64 v[2:3], v[2:3], 0, s[30:31]
	s_addc_u32 s35, s35, s31
	v_lshl_add_u64 v[4:5], v[4:5], 0, s[36:37]
	v_add_u32_e32 v18, 0x200, v18
	s_and_b64 vcc, exec, s[2:3]
	s_mov_b32 s4, s7
	s_waitcnt lgkmcnt(0)
	s_barrier
	s_cbranch_vccnz .LBB13_106
.LBB13_58:                              ; =>This Loop Header: Depth=1
                                        ;     Child Loop BB13_63 Depth 2
                                        ;     Child Loop BB13_76 Depth 2
                                        ;       Child Loop BB13_79 Depth 3
	v_add_u32_e32 v19, s4, v0
	v_cmp_le_i32_e32 vcc, s5, v19
	v_cmp_gt_i32_e64 s[0:1], s5, v19
	s_and_saveexec_b64 s[2:3], s[0:1]
	s_cbranch_execz .LBB13_60
; %bb.59:                               ;   in Loop: Header=BB13_58 Depth=1
	v_mad_u64_u32 v[8:9], s[42:43], s8, v19, 0
	v_mov_b32_e32 v10, v9
	v_mad_u64_u32 v[10:11], s[42:43], s9, v19, v[10:11]
	v_mov_b32_e32 v9, v10
	v_lshl_add_u64 v[8:9], v[8:9], 3, s[16:17]
	flat_load_dwordx2 v[8:9], v[8:9]
	s_waitcnt vmcnt(0) lgkmcnt(0)
	ds_write_b64 v1, v[8:9]
.LBB13_60:                              ;   in Loop: Header=BB13_58 Depth=1
	s_or_b64 exec, exec, s[2:3]
	v_subrev_u32_e32 v7, s6, v19
	s_mov_b32 s7, 0
	s_movk_i32 s33, 0x1000
	v_mov_b64_e32 v[8:9], s[34:35]
	s_xor_b64 s[42:43], vcc, -1
	v_mov_b64_e32 v[10:11], v[2:3]
	s_waitcnt lgkmcnt(0)
	s_barrier
	s_branch .LBB13_63
.LBB13_61:                              ;   in Loop: Header=BB13_63 Depth=2
	s_or_b64 exec, exec, s[2:3]
	s_add_i32 s7, s7, 1
	s_add_i32 s33, s33, 8
	s_cmpk_eq_i32 s7, 0x200
	v_lshl_add_u64 v[10:11], v[10:11], 0, 8
	v_lshl_add_u64 v[8:9], v[8:9], 0, s[28:29]
	s_cselect_b64 s[2:3], -1, 0
.LBB13_62:                              ;   in Loop: Header=BB13_63 Depth=2
	s_and_b64 vcc, exec, s[2:3]
	s_cbranch_vccnz .LBB13_72
.LBB13_63:                              ;   Parent Loop BB13_58 Depth=1
                                        ; =>  This Inner Loop Header: Depth=2
	s_add_i32 s46, s4, s7
	s_cmp_ge_i32 s46, s5
	s_mov_b64 s[2:3], -1
	s_cbranch_scc1 .LBB13_62
; %bb.64:                               ;   in Loop: Header=BB13_63 Depth=2
	v_cmp_eq_u32_e32 vcc, s7, v0
	s_and_b64 s[44:45], s[40:41], vcc
	s_and_saveexec_b64 s[2:3], s[44:45]
	s_cbranch_execz .LBB13_70
; %bb.65:                               ;   in Loop: Header=BB13_63 Depth=2
	flat_load_dwordx2 v[14:15], v[8:9]
	ds_read_b64 v[12:13], v1
                                        ; implicit-def: $vgpr16_vgpr17
	s_waitcnt vmcnt(0) lgkmcnt(0)
	v_cmp_ngt_f32_e64 s[44:45], |v14|, |v15|
	s_and_saveexec_b64 s[48:49], s[44:45]
	s_xor_b64 s[44:45], exec, s[48:49]
	s_cbranch_execz .LBB13_67
; %bb.66:                               ;   in Loop: Header=BB13_63 Depth=2
	v_div_scale_f32 v16, s[48:49], v15, v15, v14
	v_rcp_f32_e32 v17, v16
	v_div_scale_f32 v20, vcc, v14, v15, v14
	v_fma_f32 v21, -v16, v17, 1.0
	v_fmac_f32_e32 v17, v21, v17
	v_mul_f32_e32 v21, v20, v17
	v_fma_f32 v22, -v16, v21, v20
	v_fmac_f32_e32 v21, v22, v17
	v_fma_f32 v16, -v16, v21, v20
	v_div_fmas_f32 v16, v16, v17, v21
	v_div_fixup_f32 v16, v16, v15, v14
	v_fmac_f32_e32 v15, v14, v16
	v_div_scale_f32 v14, s[48:49], v15, v15, 1.0
	v_rcp_f32_e32 v17, v14
	s_nop 0
	v_fma_f32 v20, -v14, v17, 1.0
	v_fmac_f32_e32 v17, v20, v17
	v_div_scale_f32 v20, vcc, 1.0, v15, 1.0
	v_mul_f32_e32 v21, v20, v17
	v_fma_f32 v22, -v14, v21, v20
	v_fmac_f32_e32 v21, v22, v17
	v_fma_f32 v14, -v14, v21, v20
	v_div_fmas_f32 v14, v14, v17, v21
	v_pk_fma_f32 v[20:21], v[16:17], v[12:13], v[12:13] op_sel:[0,0,1] op_sel_hi:[1,1,0]
	v_pk_fma_f32 v[12:13], v[16:17], v[12:13], v[12:13] op_sel:[0,0,1] op_sel_hi:[0,1,0] neg_lo:[0,0,1] neg_hi:[0,0,1]
	v_div_fixup_f32 v14, v14, v15, 1.0
	v_mov_b32_e32 v21, v13
	v_pk_mul_f32 v[16:17], v[14:15], v[20:21] op_sel_hi:[0,1]
                                        ; implicit-def: $vgpr14_vgpr15
                                        ; implicit-def: $vgpr12_vgpr13
.LBB13_67:                              ;   in Loop: Header=BB13_63 Depth=2
	s_andn2_saveexec_b64 s[44:45], s[44:45]
	s_cbranch_execz .LBB13_69
; %bb.68:                               ;   in Loop: Header=BB13_63 Depth=2
	v_div_scale_f32 v16, s[48:49], v14, v14, v15
	v_rcp_f32_e32 v17, v16
	v_div_scale_f32 v20, vcc, v15, v14, v15
	v_fma_f32 v21, -v16, v17, 1.0
	v_fmac_f32_e32 v17, v21, v17
	v_mul_f32_e32 v21, v20, v17
	v_fma_f32 v22, -v16, v21, v20
	v_fmac_f32_e32 v21, v22, v17
	v_fma_f32 v16, -v16, v21, v20
	v_div_fmas_f32 v16, v16, v17, v21
	v_div_fixup_f32 v16, v16, v14, v15
	v_fmac_f32_e32 v14, v15, v16
	v_div_scale_f32 v15, s[48:49], v14, v14, 1.0
	v_rcp_f32_e32 v17, v15
	s_nop 0
	v_fma_f32 v20, -v15, v17, 1.0
	v_fmac_f32_e32 v17, v20, v17
	v_div_scale_f32 v20, vcc, 1.0, v14, 1.0
	v_mul_f32_e32 v21, v20, v17
	v_fma_f32 v22, -v15, v21, v20
	v_fmac_f32_e32 v21, v22, v17
	v_fma_f32 v15, -v15, v21, v20
	v_div_fmas_f32 v15, v15, v17, v21
	v_pk_fma_f32 v[20:21], v[16:17], v[12:13], v[12:13] op_sel:[0,1,0] op_sel_hi:[1,0,1]
	v_pk_fma_f32 v[12:13], v[16:17], v[12:13], v[12:13] op_sel:[0,1,0] op_sel_hi:[0,0,1] neg_lo:[1,0,0] neg_hi:[1,0,0]
	v_div_fixup_f32 v14, v15, v14, 1.0
	v_mov_b32_e32 v21, v13
	v_pk_mul_f32 v[16:17], v[14:15], v[20:21] op_sel_hi:[0,1]
.LBB13_69:                              ;   in Loop: Header=BB13_63 Depth=2
	s_or_b64 exec, exec, s[44:45]
	ds_write_b64 v1, v[16:17]
.LBB13_70:                              ;   in Loop: Header=BB13_63 Depth=2
	s_or_b64 exec, exec, s[2:3]
	v_cmp_lt_u32_e32 vcc, s7, v0
	v_cmp_ge_i32_e64 s[2:3], s46, v7
	s_and_b64 s[44:45], s[42:43], vcc
	s_and_b64 s[44:45], s[44:45], s[2:3]
	s_waitcnt lgkmcnt(0)
	s_barrier
	s_and_saveexec_b64 s[2:3], s[44:45]
	s_cbranch_execz .LBB13_61
; %bb.71:                               ;   in Loop: Header=BB13_63 Depth=2
	flat_load_dwordx2 v[12:13], v[10:11]
	v_mov_b32_e32 v14, s33
	ds_read_b64 v[14:15], v14
	ds_read_b64 v[16:17], v1
	s_waitcnt vmcnt(0) lgkmcnt(0)
	v_pk_mul_f32 v[20:21], v[14:15], v[12:13] op_sel:[1,1] op_sel_hi:[0,1]
	v_pk_fma_f32 v[22:23], v[14:15], v[12:13], v[20:21] neg_lo:[0,0,1] neg_hi:[0,0,1]
	v_pk_fma_f32 v[12:13], v[14:15], v[12:13], v[20:21] op_sel_hi:[1,0,1]
	s_nop 0
	v_mov_b32_e32 v23, v13
	v_pk_add_f32 v[12:13], v[16:17], v[22:23] neg_lo:[0,1] neg_hi:[0,1]
	ds_write_b64 v1, v[12:13]
	s_branch .LBB13_61
.LBB13_72:                              ;   in Loop: Header=BB13_58 Depth=1
	s_add_i32 s7, s4, 0x200
	s_cmp_ge_i32 s7, s5
	s_cselect_b64 s[2:3], -1, 0
	s_and_b64 vcc, exec, s[2:3]
	s_waitcnt lgkmcnt(0)
	s_barrier
	s_cbranch_vccnz .LBB13_104
; %bb.73:                               ;   in Loop: Header=BB13_58 Depth=1
	v_mad_i64_i32 v[8:9], s[42:43], v18, -8, v[4:5]
	s_mov_b64 s[42:43], 0
	v_mov_b32_e32 v14, v0
	s_mov_b32 s33, s7
                                        ; implicit-def: $sgpr44_sgpr45
	s_branch .LBB13_76
.LBB13_74:                              ;   in Loop: Header=BB13_76 Depth=2
	v_mad_u64_u32 v[12:13], s[48:49], s8, v15, 0
	v_mov_b32_e32 v16, v13
	v_mad_u64_u32 v[16:17], s[48:49], s9, v15, v[16:17]
	v_mov_b32_e32 v13, v16
	v_lshl_add_u64 v[12:13], v[12:13], 3, s[16:17]
	flat_load_dwordx2 v[16:17], v[12:13]
	s_addk_i32 s33, 0x200
	s_cmp_ge_i32 s33, s5
	s_cselect_b64 s[48:49], -1, 0
	s_andn2_b64 s[44:45], s[44:45], exec
	s_and_b64 s[48:49], s[48:49], exec
	v_lshl_add_u64 v[8:9], v[8:9], 0, s[38:39]
	s_or_b64 s[44:45], s[44:45], s[48:49]
	s_waitcnt vmcnt(0) lgkmcnt(0)
	v_pk_add_f32 v[10:11], v[16:17], v[10:11] neg_lo:[0,1] neg_hi:[0,1]
	flat_store_dwordx2 v[12:13], v[10:11]
.LBB13_75:                              ;   in Loop: Header=BB13_76 Depth=2
	s_or_b64 exec, exec, s[46:47]
	s_and_b64 s[46:47], exec, s[44:45]
	s_or_b64 s[42:43], s[46:47], s[42:43]
	s_andn2_b64 exec, exec, s[42:43]
	s_cbranch_execz .LBB13_103
.LBB13_76:                              ;   Parent Loop BB13_58 Depth=1
                                        ; =>  This Loop Header: Depth=2
                                        ;       Child Loop BB13_79 Depth 3
	v_add_u32_e32 v15, s33, v0
	v_cmp_gt_i32_e32 vcc, s5, v15
	s_or_b64 s[44:45], s[44:45], exec
	s_and_saveexec_b64 s[46:47], vcc
	s_cbranch_execz .LBB13_75
; %bb.77:                               ;   in Loop: Header=BB13_76 Depth=2
	v_mov_b32_e32 v7, v6
	v_subrev_u32_e32 v16, s6, v15
	v_add_u32_e32 v17, 0x1fd, v14
	v_add_u32_e32 v20, 0x1fe, v14
	;; [unrolled: 1-line block ×4, first 2 shown]
	s_mov_b32 s52, 0
	s_movk_i32 s53, 0x1000
	v_mov_b64_e32 v[12:13], v[8:9]
	v_mov_b64_e32 v[10:11], v[6:7]
	s_branch .LBB13_79
.LBB13_78:                              ;   in Loop: Header=BB13_79 Depth=3
	s_or_b64 exec, exec, s[48:49]
	s_add_i32 s52, s52, 4
	s_add_i32 s53, s53, 32
	s_cmpk_eq_i32 s52, 0x200
	v_lshl_add_u64 v[12:13], v[12:13], 0, 32
	s_cbranch_scc1 .LBB13_74
.LBB13_79:                              ;   Parent Loop BB13_58 Depth=1
                                        ;     Parent Loop BB13_76 Depth=2
                                        ; =>    This Inner Loop Header: Depth=3
	v_cmp_ne_u32_e32 vcc, s52, v14
	s_add_i32 s54, s4, s52
	s_or_b64 s[48:49], s[40:41], vcc
	s_and_saveexec_b64 s[50:51], s[48:49]
	s_xor_b64 s[48:49], exec, s[50:51]
	s_cbranch_execz .LBB13_83
; %bb.80:                               ;   in Loop: Header=BB13_79 Depth=3
	s_cmp_lt_i32 s54, s5
	s_cselect_b64 s[50:51], -1, 0
	v_cmp_ge_i32_e32 vcc, s54, v16
	s_and_b64 s[56:57], s[50:51], vcc
	s_and_saveexec_b64 s[50:51], s[56:57]
	s_cbranch_execz .LBB13_82
; %bb.81:                               ;   in Loop: Header=BB13_79 Depth=3
	flat_load_dwordx2 v[22:23], v[12:13]
	v_mov_b32_e32 v7, s53
	ds_read_b64 v[24:25], v7
	s_waitcnt vmcnt(0) lgkmcnt(0)
	v_pk_mul_f32 v[26:27], v[24:25], v[22:23] op_sel:[1,1] op_sel_hi:[0,1]
	v_pk_fma_f32 v[28:29], v[24:25], v[22:23], v[26:27] neg_lo:[0,0,1] neg_hi:[0,0,1]
	v_pk_fma_f32 v[22:23], v[24:25], v[22:23], v[26:27] op_sel_hi:[1,0,1]
	s_nop 0
	v_mov_b32_e32 v29, v23
	v_pk_add_f32 v[10:11], v[10:11], v[28:29]
.LBB13_82:                              ;   in Loop: Header=BB13_79 Depth=3
	s_or_b64 exec, exec, s[50:51]
.LBB13_83:                              ;   in Loop: Header=BB13_79 Depth=3
	s_andn2_saveexec_b64 s[48:49], s[48:49]
	s_cbranch_execz .LBB13_85
; %bb.84:                               ;   in Loop: Header=BB13_79 Depth=3
	v_mov_b32_e32 v7, s53
	ds_read_b64 v[22:23], v7
	s_waitcnt lgkmcnt(0)
	v_pk_add_f32 v[10:11], v[10:11], v[22:23]
.LBB13_85:                              ;   in Loop: Header=BB13_79 Depth=3
	s_or_b64 exec, exec, s[48:49]
	v_cmp_ne_u32_e32 vcc, s52, v21
	s_or_b64 s[48:49], s[40:41], vcc
	s_and_saveexec_b64 s[50:51], s[48:49]
	s_xor_b64 s[48:49], exec, s[50:51]
	s_cbranch_execz .LBB13_89
; %bb.86:                               ;   in Loop: Header=BB13_79 Depth=3
	s_add_i32 s55, s54, 1
	s_cmp_lt_i32 s55, s5
	s_cselect_b64 s[50:51], -1, 0
	v_cmp_ge_i32_e32 vcc, s55, v16
	s_and_b64 s[56:57], s[50:51], vcc
	s_and_saveexec_b64 s[50:51], s[56:57]
	s_cbranch_execz .LBB13_88
; %bb.87:                               ;   in Loop: Header=BB13_79 Depth=3
	flat_load_dwordx2 v[22:23], v[12:13] offset:8
	v_mov_b32_e32 v7, s53
	ds_read_b64 v[24:25], v7 offset:8
	s_waitcnt vmcnt(0) lgkmcnt(0)
	v_pk_mul_f32 v[26:27], v[24:25], v[22:23] op_sel:[1,1] op_sel_hi:[0,1]
	v_pk_fma_f32 v[28:29], v[24:25], v[22:23], v[26:27] neg_lo:[0,0,1] neg_hi:[0,0,1]
	v_pk_fma_f32 v[22:23], v[24:25], v[22:23], v[26:27] op_sel_hi:[1,0,1]
	s_nop 0
	v_mov_b32_e32 v29, v23
	v_pk_add_f32 v[10:11], v[10:11], v[28:29]
.LBB13_88:                              ;   in Loop: Header=BB13_79 Depth=3
	s_or_b64 exec, exec, s[50:51]
.LBB13_89:                              ;   in Loop: Header=BB13_79 Depth=3
	s_andn2_saveexec_b64 s[48:49], s[48:49]
	s_cbranch_execz .LBB13_91
; %bb.90:                               ;   in Loop: Header=BB13_79 Depth=3
	v_mov_b32_e32 v7, s53
	ds_read_b64 v[22:23], v7 offset:8
	s_waitcnt lgkmcnt(0)
	v_pk_add_f32 v[10:11], v[10:11], v[22:23]
.LBB13_91:                              ;   in Loop: Header=BB13_79 Depth=3
	s_or_b64 exec, exec, s[48:49]
	v_cmp_ne_u32_e32 vcc, s52, v20
	s_or_b64 s[48:49], s[40:41], vcc
	s_and_saveexec_b64 s[50:51], s[48:49]
	s_xor_b64 s[48:49], exec, s[50:51]
	s_cbranch_execz .LBB13_95
; %bb.92:                               ;   in Loop: Header=BB13_79 Depth=3
	s_add_i32 s55, s54, 2
	s_cmp_lt_i32 s55, s5
	s_cselect_b64 s[50:51], -1, 0
	v_cmp_ge_i32_e32 vcc, s55, v16
	s_and_b64 s[56:57], s[50:51], vcc
	s_and_saveexec_b64 s[50:51], s[56:57]
	s_cbranch_execz .LBB13_94
; %bb.93:                               ;   in Loop: Header=BB13_79 Depth=3
	flat_load_dwordx2 v[22:23], v[12:13] offset:16
	v_mov_b32_e32 v7, s53
	ds_read_b64 v[24:25], v7 offset:16
	s_waitcnt vmcnt(0) lgkmcnt(0)
	v_pk_mul_f32 v[26:27], v[24:25], v[22:23] op_sel:[1,1] op_sel_hi:[0,1]
	v_pk_fma_f32 v[28:29], v[24:25], v[22:23], v[26:27] neg_lo:[0,0,1] neg_hi:[0,0,1]
	v_pk_fma_f32 v[22:23], v[24:25], v[22:23], v[26:27] op_sel_hi:[1,0,1]
	s_nop 0
	v_mov_b32_e32 v29, v23
	v_pk_add_f32 v[10:11], v[10:11], v[28:29]
.LBB13_94:                              ;   in Loop: Header=BB13_79 Depth=3
	s_or_b64 exec, exec, s[50:51]
.LBB13_95:                              ;   in Loop: Header=BB13_79 Depth=3
	s_andn2_saveexec_b64 s[48:49], s[48:49]
	s_cbranch_execz .LBB13_97
; %bb.96:                               ;   in Loop: Header=BB13_79 Depth=3
	v_mov_b32_e32 v7, s53
	ds_read_b64 v[22:23], v7 offset:16
	s_waitcnt lgkmcnt(0)
	v_pk_add_f32 v[10:11], v[10:11], v[22:23]
.LBB13_97:                              ;   in Loop: Header=BB13_79 Depth=3
	s_or_b64 exec, exec, s[48:49]
	v_cmp_ne_u32_e32 vcc, s52, v17
	s_or_b64 s[48:49], s[40:41], vcc
	s_and_saveexec_b64 s[50:51], s[48:49]
	s_xor_b64 s[48:49], exec, s[50:51]
	s_cbranch_execz .LBB13_101
; %bb.98:                               ;   in Loop: Header=BB13_79 Depth=3
	s_add_i32 s54, s54, 3
	s_cmp_lt_i32 s54, s5
	s_cselect_b64 s[50:51], -1, 0
	v_cmp_ge_i32_e32 vcc, s54, v16
	s_and_b64 s[54:55], s[50:51], vcc
	s_and_saveexec_b64 s[50:51], s[54:55]
	s_cbranch_execz .LBB13_100
; %bb.99:                               ;   in Loop: Header=BB13_79 Depth=3
	flat_load_dwordx2 v[22:23], v[12:13] offset:24
	v_mov_b32_e32 v7, s53
	ds_read_b64 v[24:25], v7 offset:24
	s_waitcnt vmcnt(0) lgkmcnt(0)
	v_pk_mul_f32 v[26:27], v[24:25], v[22:23] op_sel:[1,1] op_sel_hi:[0,1]
	v_pk_fma_f32 v[28:29], v[24:25], v[22:23], v[26:27] neg_lo:[0,0,1] neg_hi:[0,0,1]
	v_pk_fma_f32 v[22:23], v[24:25], v[22:23], v[26:27] op_sel_hi:[1,0,1]
	s_nop 0
	v_mov_b32_e32 v29, v23
	v_pk_add_f32 v[10:11], v[10:11], v[28:29]
.LBB13_100:                             ;   in Loop: Header=BB13_79 Depth=3
	s_or_b64 exec, exec, s[50:51]
.LBB13_101:                             ;   in Loop: Header=BB13_79 Depth=3
	s_andn2_saveexec_b64 s[48:49], s[48:49]
	s_cbranch_execz .LBB13_78
; %bb.102:                              ;   in Loop: Header=BB13_79 Depth=3
	v_mov_b32_e32 v7, s53
	ds_read_b64 v[22:23], v7 offset:24
	s_waitcnt lgkmcnt(0)
	v_pk_add_f32 v[10:11], v[10:11], v[22:23]
	s_branch .LBB13_78
.LBB13_103:                             ;   in Loop: Header=BB13_58 Depth=1
	s_or_b64 exec, exec, s[42:43]
.LBB13_104:                             ;   in Loop: Header=BB13_58 Depth=1
	s_and_saveexec_b64 s[42:43], s[0:1]
	s_cbranch_execz .LBB13_57
; %bb.105:                              ;   in Loop: Header=BB13_58 Depth=1
	v_mad_u64_u32 v[8:9], s[0:1], s8, v19, 0
	ds_read_b64 v[12:13], v1
	v_mov_b32_e32 v10, v9
	v_mad_u64_u32 v[10:11], s[0:1], s9, v19, v[10:11]
	v_mov_b32_e32 v9, v10
	v_lshl_add_u64 v[8:9], v[8:9], 3, s[16:17]
	s_waitcnt lgkmcnt(0)
	flat_store_dwordx2 v[8:9], v[12:13]
	s_branch .LBB13_57
.LBB13_106:
	s_mov_b64 s[0:1], 0
.LBB13_107:
	s_andn2_b64 vcc, exec, s[0:1]
	s_cbranch_vccnz .LBB13_189
; %bb.108:
	s_mov_b64 s[0:1], -1
	s_and_b64 vcc, exec, s[26:27]
	s_cbranch_vccz .LBB13_149
; %bb.109:
	s_andn2_b64 vcc, exec, s[24:25]
	s_cbranch_vccnz .LBB13_148
; %bb.110:
	s_lshl_b64 s[26:27], s[12:13], 12
	s_lshl_b64 s[28:29], s[12:13], 3
	s_add_u32 s30, s20, s28
	s_addc_u32 s31, s21, s29
	s_lshl_b64 s[0:1], s[12:13], 4
	s_add_u32 s4, s0, -16
	v_lshlrev_b32_e32 v1, 3, v0
	v_or_b32_e32 v2, 0x200, v0
	s_addc_u32 s7, s1, -1
	s_mov_b32 s33, 0
	s_mov_b64 s[34:35], -1
	s_mov_b64 s[36:37], 0
	s_xor_b64 s[38:39], s[18:19], -1
	v_mov_b32_e32 v5, 0
	s_mov_b64 s[40:41], 0
	s_mov_b64 s[42:43], s[14:15]
	s_branch .LBB13_112
.LBB13_111:                             ;   in Loop: Header=BB13_112 Depth=1
	s_or_b64 exec, exec, s[44:45]
	s_add_u32 s42, s42, s26
	s_addc_u32 s43, s43, s27
	s_add_u32 s34, s34, 0xfffffe00
	s_addc_u32 s35, s35, -1
	s_add_u32 s40, s40, s26
	s_addc_u32 s41, s41, s27
	s_add_u32 s36, s36, 0xfffffe00
	v_add_u32_e32 v2, 0x200, v2
	s_addc_u32 s37, s37, -1
	s_and_b64 vcc, exec, s[2:3]
	s_mov_b32 s33, s60
	s_waitcnt lgkmcnt(0)
	s_barrier
	s_cbranch_vccnz .LBB13_148
.LBB13_112:                             ; =>This Loop Header: Depth=1
                                        ;     Child Loop BB13_116 Depth 2
                                        ;     Child Loop BB13_130 Depth 2
                                        ;       Child Loop BB13_133 Depth 3
	v_add_u32_e32 v12, s33, v0
	v_cmp_le_i32_e32 vcc, s5, v12
	v_cmp_gt_i32_e64 s[0:1], s5, v12
	s_and_saveexec_b64 s[2:3], s[0:1]
	s_cbranch_execz .LBB13_114
; %bb.113:                              ;   in Loop: Header=BB13_112 Depth=1
	v_mad_u64_u32 v[6:7], s[44:45], s8, v12, 0
	v_mov_b32_e32 v4, v7
	v_mad_u64_u32 v[8:9], s[44:45], s9, v12, v[4:5]
	v_mov_b32_e32 v7, v8
	v_lshl_add_u64 v[6:7], v[6:7], 3, s[16:17]
	flat_load_dwordx2 v[6:7], v[6:7]
	s_waitcnt vmcnt(0) lgkmcnt(0)
	ds_write_b64 v1, v[6:7]
.LBB13_114:                             ;   in Loop: Header=BB13_112 Depth=1
	s_or_b64 exec, exec, s[2:3]
	v_subrev_u32_e32 v3, s6, v12
	s_mov_b32 s50, 0
	s_xor_b64 s[44:45], vcc, -1
	s_mov_b64 s[46:47], s[42:43]
	v_mov_b32_e32 v4, v0
	s_mov_b32 s51, 0
	s_waitcnt lgkmcnt(0)
	s_barrier
	s_branch .LBB13_116
.LBB13_115:                             ;   in Loop: Header=BB13_116 Depth=2
                                        ; implicit-def: $sgpr51
                                        ; implicit-def: $sgpr50
                                        ; implicit-def: $sgpr46_sgpr47
	s_cbranch_execnz .LBB13_126
.LBB13_116:                             ;   Parent Loop BB13_112 Depth=1
                                        ; =>  This Inner Loop Header: Depth=2
	s_add_i32 s52, s33, s51
	s_cmp_ge_i32 s52, s5
	s_cbranch_scc1 .LBB13_115
; %bb.117:                              ;   in Loop: Header=BB13_116 Depth=2
	v_cmp_eq_u32_e32 vcc, s51, v0
	s_and_b64 s[48:49], s[38:39], vcc
	s_and_saveexec_b64 s[2:3], s[48:49]
	s_cbranch_execz .LBB13_123
; %bb.118:                              ;   in Loop: Header=BB13_116 Depth=2
	v_mov_b64_e32 v[6:7], s[46:47]
	flat_load_dwordx2 v[8:9], v[6:7]
	ds_read_b64 v[6:7], v1
                                        ; implicit-def: $vgpr10_vgpr11
	s_waitcnt vmcnt(0) lgkmcnt(0)
	v_cmp_ngt_f32_e64 s[48:49], |v8|, |v9|
	s_and_saveexec_b64 s[54:55], s[48:49]
	s_xor_b64 s[48:49], exec, s[54:55]
	s_cbranch_execz .LBB13_120
; %bb.119:                              ;   in Loop: Header=BB13_116 Depth=2
	v_div_scale_f32 v10, s[54:55], v9, v9, v8
	v_rcp_f32_e32 v11, v10
	v_div_scale_f32 v13, vcc, v8, v9, v8
	v_fma_f32 v14, -v10, v11, 1.0
	v_fmac_f32_e32 v11, v14, v11
	v_mul_f32_e32 v14, v13, v11
	v_fma_f32 v15, -v10, v14, v13
	v_fmac_f32_e32 v14, v15, v11
	v_fma_f32 v10, -v10, v14, v13
	v_div_fmas_f32 v10, v10, v11, v14
	v_div_fixup_f32 v10, v10, v9, v8
	v_fmac_f32_e32 v9, v8, v10
	v_div_scale_f32 v8, s[54:55], v9, v9, 1.0
	v_rcp_f32_e32 v11, v8
	s_nop 0
	v_fma_f32 v13, -v8, v11, 1.0
	v_fmac_f32_e32 v11, v13, v11
	v_div_scale_f32 v13, vcc, 1.0, v9, 1.0
	v_mul_f32_e32 v14, v13, v11
	v_fma_f32 v15, -v8, v14, v13
	v_fmac_f32_e32 v14, v15, v11
	v_fma_f32 v8, -v8, v14, v13
	v_div_fmas_f32 v8, v8, v11, v14
	v_pk_fma_f32 v[14:15], v[10:11], v[6:7], v[6:7] op_sel:[0,0,1] op_sel_hi:[1,1,0]
	v_pk_fma_f32 v[6:7], v[10:11], v[6:7], v[6:7] op_sel:[0,0,1] op_sel_hi:[0,1,0] neg_lo:[0,0,1] neg_hi:[0,0,1]
	v_div_fixup_f32 v8, v8, v9, 1.0
	v_mov_b32_e32 v15, v7
	v_pk_mul_f32 v[10:11], v[8:9], v[14:15] op_sel_hi:[0,1]
                                        ; implicit-def: $vgpr8_vgpr9
                                        ; implicit-def: $vgpr6_vgpr7
.LBB13_120:                             ;   in Loop: Header=BB13_116 Depth=2
	s_andn2_saveexec_b64 s[48:49], s[48:49]
	s_cbranch_execz .LBB13_122
; %bb.121:                              ;   in Loop: Header=BB13_116 Depth=2
	v_div_scale_f32 v10, s[54:55], v8, v8, v9
	v_rcp_f32_e32 v11, v10
	v_div_scale_f32 v13, vcc, v9, v8, v9
	v_fma_f32 v14, -v10, v11, 1.0
	v_fmac_f32_e32 v11, v14, v11
	v_mul_f32_e32 v14, v13, v11
	v_fma_f32 v15, -v10, v14, v13
	v_fmac_f32_e32 v14, v15, v11
	v_fma_f32 v10, -v10, v14, v13
	v_div_fmas_f32 v10, v10, v11, v14
	v_div_fixup_f32 v10, v10, v8, v9
	v_fmac_f32_e32 v8, v9, v10
	v_div_scale_f32 v9, s[54:55], v8, v8, 1.0
	v_rcp_f32_e32 v11, v9
	s_nop 0
	v_fma_f32 v13, -v9, v11, 1.0
	v_fmac_f32_e32 v11, v13, v11
	v_div_scale_f32 v13, vcc, 1.0, v8, 1.0
	v_mul_f32_e32 v14, v13, v11
	v_fma_f32 v15, -v9, v14, v13
	v_fmac_f32_e32 v14, v15, v11
	v_fma_f32 v9, -v9, v14, v13
	v_div_fmas_f32 v9, v9, v11, v14
	v_pk_fma_f32 v[14:15], v[10:11], v[6:7], v[6:7] op_sel:[0,1,0] op_sel_hi:[1,0,1]
	v_pk_fma_f32 v[6:7], v[10:11], v[6:7], v[6:7] op_sel:[0,1,0] op_sel_hi:[0,0,1] neg_lo:[1,0,0] neg_hi:[1,0,0]
	v_div_fixup_f32 v8, v9, v8, 1.0
	v_mov_b32_e32 v15, v7
	v_pk_mul_f32 v[10:11], v[8:9], v[14:15] op_sel_hi:[0,1]
.LBB13_122:                             ;   in Loop: Header=BB13_116 Depth=2
	s_or_b64 exec, exec, s[48:49]
	ds_write_b64 v1, v[10:11]
.LBB13_123:                             ;   in Loop: Header=BB13_116 Depth=2
	s_or_b64 exec, exec, s[2:3]
	v_cmp_lt_u32_e32 vcc, s51, v0
	v_cmp_ge_i32_e64 s[2:3], s52, v3
	s_and_b64 s[48:49], s[44:45], vcc
	s_and_b64 s[48:49], s[48:49], s[2:3]
	s_waitcnt lgkmcnt(0)
	s_barrier
	s_and_saveexec_b64 s[2:3], s[48:49]
	s_cbranch_execz .LBB13_125
; %bb.124:                              ;   in Loop: Header=BB13_116 Depth=2
	v_lshl_add_u64 v[6:7], v[4:5], 3, s[46:47]
	flat_load_dwordx2 v[6:7], v[6:7]
	v_mov_b32_e32 v8, s50
	ds_read_b64 v[8:9], v8
	ds_read_b64 v[10:11], v1
	s_waitcnt vmcnt(0) lgkmcnt(0)
	v_pk_mul_f32 v[14:15], v[8:9], v[6:7] op_sel:[1,1] op_sel_hi:[0,1]
	v_pk_fma_f32 v[16:17], v[8:9], v[6:7], v[14:15] neg_lo:[0,0,1] neg_hi:[0,0,1]
	v_pk_fma_f32 v[6:7], v[8:9], v[6:7], v[14:15] op_sel_hi:[1,0,1]
	s_nop 0
	v_mov_b32_e32 v17, v7
	v_pk_add_f32 v[6:7], v[10:11], v[16:17] neg_lo:[0,1] neg_hi:[0,1]
	ds_write_b64 v1, v[6:7]
.LBB13_125:                             ;   in Loop: Header=BB13_116 Depth=2
	s_or_b64 exec, exec, s[2:3]
	s_add_i32 s51, s51, 1
	s_add_i32 s50, s50, 8
	s_add_u32 s46, s46, s28
	s_addc_u32 s47, s47, s29
	s_cmpk_eq_i32 s51, 0x200
	v_add_u32_e32 v4, -1, v4
	s_cselect_b64 s[2:3], -1, 0
	s_and_b64 vcc, exec, s[2:3]
	s_cbranch_vccz .LBB13_116
.LBB13_126:                             ;   in Loop: Header=BB13_112 Depth=1
	s_add_i32 s60, s33, 0x200
	s_cmp_ge_i32 s60, s5
	s_cselect_b64 s[2:3], -1, 0
	s_and_b64 vcc, exec, s[2:3]
	s_waitcnt lgkmcnt(0)
	s_barrier
	s_cbranch_vccnz .LBB13_146
; %bb.127:                              ;   in Loop: Header=BB13_112 Depth=1
	v_ashrrev_i32_e32 v3, 31, v2
	v_lshl_add_u64 v[6:7], s[34:35], 0, v[2:3]
	v_lshl_add_u64 v[8:9], s[36:37], 0, v[2:3]
	v_lshlrev_b64 v[6:7], 3, v[6:7]
	v_lshlrev_b64 v[8:9], 3, v[8:9]
	s_mov_b64 s[44:45], 0
	v_mov_b32_e32 v3, v0
	s_mov_b64 s[46:47], s[40:41]
	s_mov_b32 s61, s60
                                        ; implicit-def: $sgpr48_sgpr49
	s_branch .LBB13_130
.LBB13_128:                             ;   in Loop: Header=BB13_130 Depth=2
	v_mad_u64_u32 v[14:15], s[52:53], s8, v13, 0
	v_mov_b32_e32 v4, v15
	v_mad_u64_u32 v[16:17], s[52:53], s9, v13, v[4:5]
	v_mov_b32_e32 v15, v16
	v_lshl_add_u64 v[14:15], v[14:15], 3, s[16:17]
	flat_load_dwordx2 v[16:17], v[14:15]
	s_addk_i32 s61, 0x200
	s_add_u32 s46, s46, 0x1000
	s_addc_u32 s47, s47, 0
	s_cmp_ge_i32 s61, s5
	s_cselect_b64 s[52:53], -1, 0
	s_andn2_b64 s[48:49], s[48:49], exec
	s_and_b64 s[52:53], s[52:53], exec
	s_or_b64 s[48:49], s[48:49], s[52:53]
	s_waitcnt vmcnt(0) lgkmcnt(0)
	v_pk_add_f32 v[10:11], v[16:17], v[10:11] neg_lo:[0,1] neg_hi:[0,1]
	flat_store_dwordx2 v[14:15], v[10:11]
.LBB13_129:                             ;   in Loop: Header=BB13_130 Depth=2
	s_or_b64 exec, exec, s[50:51]
	s_and_b64 s[50:51], exec, s[48:49]
	s_or_b64 s[44:45], s[50:51], s[44:45]
	s_andn2_b64 exec, exec, s[44:45]
	s_cbranch_execz .LBB13_145
.LBB13_130:                             ;   Parent Loop BB13_112 Depth=1
                                        ; =>  This Loop Header: Depth=2
                                        ;       Child Loop BB13_133 Depth 3
	v_add_u32_e32 v13, s61, v0
	v_cmp_gt_i32_e32 vcc, s5, v13
	s_or_b64 s[48:49], s[48:49], exec
	s_and_saveexec_b64 s[50:51], vcc
	s_cbranch_execz .LBB13_129
; %bb.131:                              ;   in Loop: Header=BB13_130 Depth=2
	v_mov_b32_e32 v4, v5
	v_subrev_u32_e32 v14, s6, v13
	v_add_u32_e32 v15, 0x1ff, v3
	v_add_u32_e32 v3, 0x200, v3
	s_mov_b32 s62, 0
	s_mov_b64 s[52:53], s[20:21]
	s_mov_b64 s[54:55], s[30:31]
	s_mov_b32 s63, 0
	v_mov_b64_e32 v[10:11], v[4:5]
	s_branch .LBB13_133
.LBB13_132:                             ;   in Loop: Header=BB13_133 Depth=3
	s_or_b64 exec, exec, s[56:57]
	s_add_i32 s63, s63, 2
	s_add_u32 s54, s54, s4
	s_addc_u32 s55, s55, s7
	s_add_i32 s62, s62, 16
	s_add_u32 s52, s52, s4
	s_addc_u32 s53, s53, s7
	s_cmpk_eq_i32 s63, 0x200
	s_cbranch_scc1 .LBB13_128
.LBB13_133:                             ;   Parent Loop BB13_112 Depth=1
                                        ;     Parent Loop BB13_130 Depth=2
                                        ; =>    This Inner Loop Header: Depth=3
	v_cmp_ne_u32_e32 vcc, s63, v3
	s_add_i32 s64, s33, s63
	s_or_b64 s[56:57], s[38:39], vcc
	s_and_saveexec_b64 s[58:59], s[56:57]
	s_xor_b64 s[56:57], exec, s[58:59]
	s_cbranch_execz .LBB13_137
; %bb.134:                              ;   in Loop: Header=BB13_133 Depth=3
	s_cmp_lt_i32 s64, s5
	s_cselect_b64 s[58:59], -1, 0
	v_cmp_ge_i32_e32 vcc, s64, v14
	s_and_b64 s[66:67], s[58:59], vcc
	s_and_saveexec_b64 s[58:59], s[66:67]
	s_cbranch_execz .LBB13_136
; %bb.135:                              ;   in Loop: Header=BB13_133 Depth=3
	s_add_u32 s66, s52, s22
	s_addc_u32 s67, s53, s23
	v_lshl_add_u64 v[16:17], s[66:67], 0, v[8:9]
	v_lshl_add_u64 v[16:17], v[16:17], 0, s[46:47]
	flat_load_dwordx2 v[16:17], v[16:17]
	v_mov_b32_e32 v4, s62
	ds_read_b64 v[18:19], v4
	s_waitcnt vmcnt(0) lgkmcnt(0)
	v_pk_mul_f32 v[20:21], v[18:19], v[16:17] op_sel:[1,1] op_sel_hi:[0,1]
	v_pk_fma_f32 v[22:23], v[18:19], v[16:17], v[20:21] neg_lo:[0,0,1] neg_hi:[0,0,1]
	v_pk_fma_f32 v[16:17], v[18:19], v[16:17], v[20:21] op_sel_hi:[1,0,1]
	s_nop 0
	v_mov_b32_e32 v23, v17
	v_pk_add_f32 v[10:11], v[10:11], v[22:23]
.LBB13_136:                             ;   in Loop: Header=BB13_133 Depth=3
	s_or_b64 exec, exec, s[58:59]
.LBB13_137:                             ;   in Loop: Header=BB13_133 Depth=3
	s_andn2_saveexec_b64 s[56:57], s[56:57]
	s_cbranch_execz .LBB13_139
; %bb.138:                              ;   in Loop: Header=BB13_133 Depth=3
	v_mov_b32_e32 v4, s62
	ds_read_b64 v[16:17], v4
	s_waitcnt lgkmcnt(0)
	v_pk_add_f32 v[10:11], v[10:11], v[16:17]
.LBB13_139:                             ;   in Loop: Header=BB13_133 Depth=3
	s_or_b64 exec, exec, s[56:57]
	v_cmp_ne_u32_e32 vcc, s63, v15
	s_or_b64 s[56:57], s[38:39], vcc
	s_and_saveexec_b64 s[58:59], s[56:57]
	s_xor_b64 s[56:57], exec, s[58:59]
	s_cbranch_execz .LBB13_143
; %bb.140:                              ;   in Loop: Header=BB13_133 Depth=3
	s_add_i32 s64, s64, 1
	s_cmp_lt_i32 s64, s5
	s_cselect_b64 s[58:59], -1, 0
	v_cmp_ge_i32_e32 vcc, s64, v14
	s_and_b64 s[64:65], s[58:59], vcc
	s_and_saveexec_b64 s[58:59], s[64:65]
	s_cbranch_execz .LBB13_142
; %bb.141:                              ;   in Loop: Header=BB13_133 Depth=3
	s_add_u32 s64, s54, s22
	s_addc_u32 s65, s55, s23
	v_lshl_add_u64 v[16:17], s[64:65], 0, v[6:7]
	v_lshl_add_u64 v[16:17], v[16:17], 0, s[46:47]
	flat_load_dwordx2 v[16:17], v[16:17]
	v_mov_b32_e32 v4, s62
	ds_read_b64 v[18:19], v4 offset:8
	s_waitcnt vmcnt(0) lgkmcnt(0)
	v_pk_mul_f32 v[20:21], v[18:19], v[16:17] op_sel:[1,1] op_sel_hi:[0,1]
	v_pk_fma_f32 v[22:23], v[18:19], v[16:17], v[20:21] neg_lo:[0,0,1] neg_hi:[0,0,1]
	v_pk_fma_f32 v[16:17], v[18:19], v[16:17], v[20:21] op_sel_hi:[1,0,1]
	s_nop 0
	v_mov_b32_e32 v23, v17
	v_pk_add_f32 v[10:11], v[10:11], v[22:23]
.LBB13_142:                             ;   in Loop: Header=BB13_133 Depth=3
	s_or_b64 exec, exec, s[58:59]
.LBB13_143:                             ;   in Loop: Header=BB13_133 Depth=3
	s_andn2_saveexec_b64 s[56:57], s[56:57]
	s_cbranch_execz .LBB13_132
; %bb.144:                              ;   in Loop: Header=BB13_133 Depth=3
	v_mov_b32_e32 v4, s62
	ds_read_b64 v[16:17], v4 offset:8
	s_waitcnt lgkmcnt(0)
	v_pk_add_f32 v[10:11], v[10:11], v[16:17]
	s_branch .LBB13_132
.LBB13_145:                             ;   in Loop: Header=BB13_112 Depth=1
	s_or_b64 exec, exec, s[44:45]
.LBB13_146:                             ;   in Loop: Header=BB13_112 Depth=1
	s_and_saveexec_b64 s[44:45], s[0:1]
	s_cbranch_execz .LBB13_111
; %bb.147:                              ;   in Loop: Header=BB13_112 Depth=1
	v_mad_u64_u32 v[6:7], s[0:1], s8, v12, 0
	ds_read_b64 v[8:9], v1
	v_mov_b32_e32 v4, v7
	v_mad_u64_u32 v[10:11], s[0:1], s9, v12, v[4:5]
	v_mov_b32_e32 v7, v10
	v_lshl_add_u64 v[6:7], v[6:7], 3, s[16:17]
	s_waitcnt lgkmcnt(0)
	flat_store_dwordx2 v[6:7], v[8:9]
	s_branch .LBB13_111
.LBB13_148:
	s_mov_b64 s[0:1], 0
.LBB13_149:
	s_andn2_b64 vcc, exec, s[0:1]
	s_cbranch_vccnz .LBB13_189
; %bb.150:
	s_andn2_b64 vcc, exec, s[24:25]
	s_cbranch_vccnz .LBB13_189
; %bb.151:
	s_ashr_i32 s7, s6, 31
	s_add_i32 s30, s5, 0xfffffe00
	s_add_i32 s24, s5, -1
	s_lshl_b64 s[0:1], s[6:7], 3
	s_add_u32 s2, s22, s0
	s_addc_u32 s3, s23, s1
	s_ashr_i32 s25, s24, 31
	s_lshl_b64 s[0:1], s[24:25], 3
	s_sub_u32 s0, s2, s0
	s_subb_u32 s1, s3, s1
	s_add_u32 s22, s20, s0
	s_addc_u32 s23, s21, s1
	s_lshl_b64 s[26:27], s[12:13], 3
	s_add_u32 s4, s26, 8
	s_addc_u32 s25, s27, 0
	s_sub_i32 s0, s6, s5
	s_add_i32 s33, s0, 0x1ff
	s_add_u32 s0, s10, s6
	s_addc_u32 s1, s11, s7
	s_ashr_i32 s3, s5, 31
	s_mov_b32 s2, s5
	s_lshl_b64 s[0:1], s[0:1], 3
	s_lshl_b64 s[2:3], s[2:3], 3
	s_sub_u32 s0, s0, s2
	s_subb_u32 s1, s1, s3
	s_add_u32 s0, s20, s0
	s_addc_u32 s1, s21, s1
	s_add_u32 s7, s0, 0x1000
	s_addc_u32 s42, s1, 0
	s_lshl_b64 s[0:1], s[12:13], 4
	v_mov_b32_e32 v1, 0x2000
	v_add_u32_e32 v3, s5, v0
	s_add_u32 s10, s0, -16
	v_lshl_or_b32 v1, v0, 3, v1
	v_add_u32_e32 v2, 0xfffffe00, v3
	v_add_u32_e32 v16, 0xfffffc00, v3
	s_addc_u32 s11, s1, -1
	v_mov_b32_e32 v5, 0
	s_xor_b64 s[18:19], s[18:19], -1
	s_branch .LBB13_153
.LBB13_152:                             ;   in Loop: Header=BB13_153 Depth=1
	s_or_b64 exec, exec, s[20:21]
	s_addk_i32 s24, 0xfe00
	s_add_u32 s22, s22, 0x1000
	s_addc_u32 s23, s23, 0
	s_addk_i32 s5, 0xfe00
	s_addk_i32 s33, 0x200
	s_add_u32 s7, s7, 0x1000
	v_add_u32_e32 v2, 0xfffffe00, v2
	s_addc_u32 s42, s42, 0
	v_add_u32_e32 v16, 0xfffffe00, v16
	s_and_b64 vcc, exec, s[2:3]
	s_mov_b32 s30, s43
	s_waitcnt lgkmcnt(0)
	s_barrier
	s_cbranch_vccnz .LBB13_189
.LBB13_153:                             ; =>This Loop Header: Depth=1
                                        ;     Child Loop BB13_158 Depth 2
                                        ;     Child Loop BB13_171 Depth 2
                                        ;       Child Loop BB13_174 Depth 3
	v_add_u32_e32 v17, s30, v0
	v_cmp_gt_i32_e32 vcc, 0, v17
	v_cmp_lt_i32_e64 s[0:1], -1, v17
	s_and_saveexec_b64 s[2:3], s[0:1]
	s_cbranch_execz .LBB13_155
; %bb.154:                              ;   in Loop: Header=BB13_153 Depth=1
	v_mad_u64_u32 v[6:7], s[20:21], s8, v17, 0
	v_mov_b32_e32 v4, v7
	v_mad_u64_u32 v[8:9], s[20:21], s9, v17, v[4:5]
	v_mov_b32_e32 v7, v8
	v_lshl_add_u64 v[6:7], v[6:7], 3, s[16:17]
	flat_load_dwordx2 v[6:7], v[6:7]
	s_waitcnt vmcnt(0) lgkmcnt(0)
	ds_write_b64 v1, v[6:7]
.LBB13_155:                             ;   in Loop: Header=BB13_153 Depth=1
	s_or_b64 exec, exec, s[2:3]
	v_mov_b32_e32 v3, v5
	v_mov_b64_e32 v[6:7], s[22:23]
	v_lshl_add_u64 v[8:9], v[2:3], 3, s[22:23]
	v_add_u32_e32 v3, s6, v17
	s_movk_i32 s31, 0x1ff
	s_movk_i32 s34, 0x2ff8
	s_xor_b64 s[20:21], vcc, -1
	s_mov_b32 s35, s24
	s_waitcnt lgkmcnt(0)
	s_barrier
	s_branch .LBB13_158
.LBB13_156:                             ;   in Loop: Header=BB13_158 Depth=2
	s_or_b64 exec, exec, s[2:3]
	s_add_i32 s31, s31, -1
	s_add_i32 s34, s34, -8
	;; [unrolled: 1-line block ×3, first 2 shown]
	s_cmp_eq_u32 s31, -1
	v_lshl_add_u64 v[8:9], v[8:9], 0, 8
	v_lshl_add_u64 v[6:7], v[6:7], 0, 8
	s_cselect_b64 s[2:3], -1, 0
.LBB13_157:                             ;   in Loop: Header=BB13_158 Depth=2
	s_and_b64 vcc, exec, s[2:3]
	s_cbranch_vccnz .LBB13_167
.LBB13_158:                             ;   Parent Loop BB13_153 Depth=1
                                        ; =>  This Inner Loop Header: Depth=2
	s_add_i32 s36, s24, s31
	s_addk_i32 s36, 0xfe01
	s_cmp_lt_i32 s36, 0
	s_mov_b64 s[2:3], -1
	s_cbranch_scc1 .LBB13_157
; %bb.159:                              ;   in Loop: Header=BB13_158 Depth=2
	v_cmp_eq_u32_e32 vcc, s31, v0
	s_and_b64 s[28:29], s[18:19], vcc
	s_and_saveexec_b64 s[2:3], s[28:29]
	s_cbranch_execz .LBB13_165
; %bb.160:                              ;   in Loop: Header=BB13_158 Depth=2
	s_mul_i32 s28, s25, s35
	s_mul_hi_u32 s29, s4, s35
	s_add_i32 s29, s29, s28
	s_mul_i32 s28, s4, s35
	v_lshl_add_u64 v[10:11], v[6:7], 0, s[28:29]
	flat_load_dwordx2 v[12:13], v[10:11]
	ds_read_b64 v[10:11], v1
                                        ; implicit-def: $vgpr14_vgpr15
	s_waitcnt vmcnt(0) lgkmcnt(0)
	v_cmp_ngt_f32_e64 s[28:29], |v12|, |v13|
	s_and_saveexec_b64 s[38:39], s[28:29]
	s_xor_b64 s[28:29], exec, s[38:39]
	s_cbranch_execz .LBB13_162
; %bb.161:                              ;   in Loop: Header=BB13_158 Depth=2
	v_div_scale_f32 v4, s[38:39], v13, v13, v12
	v_rcp_f32_e32 v14, v4
	v_div_scale_f32 v15, vcc, v12, v13, v12
	v_fma_f32 v18, -v4, v14, 1.0
	v_fmac_f32_e32 v14, v18, v14
	v_mul_f32_e32 v18, v15, v14
	v_fma_f32 v19, -v4, v18, v15
	v_fmac_f32_e32 v18, v19, v14
	v_fma_f32 v4, -v4, v18, v15
	v_div_fmas_f32 v4, v4, v14, v18
	v_div_fixup_f32 v4, v4, v13, v12
	v_fmac_f32_e32 v13, v12, v4
	v_div_scale_f32 v12, s[38:39], v13, v13, 1.0
	v_rcp_f32_e32 v14, v12
	s_nop 0
	v_fma_f32 v15, -v12, v14, 1.0
	v_fmac_f32_e32 v14, v15, v14
	v_div_scale_f32 v15, vcc, 1.0, v13, 1.0
	v_mul_f32_e32 v18, v15, v14
	v_fma_f32 v19, -v12, v18, v15
	v_fmac_f32_e32 v18, v19, v14
	v_fma_f32 v12, -v12, v18, v15
	v_div_fmas_f32 v12, v12, v14, v18
	v_pk_fma_f32 v[14:15], v[4:5], v[10:11], v[10:11] op_sel:[0,0,1] op_sel_hi:[1,1,0]
	v_pk_fma_f32 v[10:11], v[4:5], v[10:11], v[10:11] op_sel:[0,0,1] op_sel_hi:[0,1,0] neg_lo:[0,0,1] neg_hi:[0,0,1]
	v_div_fixup_f32 v12, v12, v13, 1.0
	v_mov_b32_e32 v15, v11
	v_pk_mul_f32 v[14:15], v[12:13], v[14:15] op_sel_hi:[0,1]
                                        ; implicit-def: $vgpr12_vgpr13
                                        ; implicit-def: $vgpr10_vgpr11
.LBB13_162:                             ;   in Loop: Header=BB13_158 Depth=2
	s_andn2_saveexec_b64 s[28:29], s[28:29]
	s_cbranch_execz .LBB13_164
; %bb.163:                              ;   in Loop: Header=BB13_158 Depth=2
	v_div_scale_f32 v4, s[38:39], v12, v12, v13
	v_rcp_f32_e32 v14, v4
	v_div_scale_f32 v15, vcc, v13, v12, v13
	v_fma_f32 v18, -v4, v14, 1.0
	v_fmac_f32_e32 v14, v18, v14
	v_mul_f32_e32 v18, v15, v14
	v_fma_f32 v19, -v4, v18, v15
	v_fmac_f32_e32 v18, v19, v14
	v_fma_f32 v4, -v4, v18, v15
	v_div_fmas_f32 v4, v4, v14, v18
	v_div_fixup_f32 v4, v4, v12, v13
	v_fmac_f32_e32 v12, v13, v4
	v_div_scale_f32 v13, s[38:39], v12, v12, 1.0
	v_rcp_f32_e32 v14, v13
	s_nop 0
	v_fma_f32 v15, -v13, v14, 1.0
	v_fmac_f32_e32 v14, v15, v14
	v_div_scale_f32 v15, vcc, 1.0, v12, 1.0
	v_mul_f32_e32 v18, v15, v14
	v_fma_f32 v19, -v13, v18, v15
	v_fmac_f32_e32 v18, v19, v14
	v_fma_f32 v13, -v13, v18, v15
	v_div_fmas_f32 v13, v13, v14, v18
	v_pk_fma_f32 v[14:15], v[4:5], v[10:11], v[10:11] op_sel:[0,1,0] op_sel_hi:[1,0,1]
	v_pk_fma_f32 v[10:11], v[4:5], v[10:11], v[10:11] op_sel:[0,1,0] op_sel_hi:[0,0,1] neg_lo:[1,0,0] neg_hi:[1,0,0]
	v_div_fixup_f32 v12, v13, v12, 1.0
	v_mov_b32_e32 v15, v11
	v_pk_mul_f32 v[14:15], v[12:13], v[14:15] op_sel_hi:[0,1]
.LBB13_164:                             ;   in Loop: Header=BB13_158 Depth=2
	s_or_b64 exec, exec, s[28:29]
	ds_write_b64 v1, v[14:15]
.LBB13_165:                             ;   in Loop: Header=BB13_158 Depth=2
	s_or_b64 exec, exec, s[2:3]
	v_cmp_gt_u32_e32 vcc, s31, v0
	v_cmp_le_i32_e64 s[2:3], s36, v3
	s_and_b64 s[28:29], s[20:21], vcc
	s_and_b64 s[28:29], s[28:29], s[2:3]
	s_waitcnt lgkmcnt(0)
	s_barrier
	s_and_saveexec_b64 s[2:3], s[28:29]
	s_cbranch_execz .LBB13_156
; %bb.166:                              ;   in Loop: Header=BB13_158 Depth=2
	v_mov_b32_e32 v4, s35
	v_mad_u64_u32 v[10:11], s[28:29], s26, v4, v[8:9]
	s_mul_i32 s28, s27, s35
	s_nop 0
	v_add_u32_e32 v11, s28, v11
	flat_load_dwordx2 v[10:11], v[10:11]
	v_mov_b32_e32 v4, s34
	ds_read_b64 v[12:13], v4
	ds_read_b64 v[14:15], v1
	s_waitcnt vmcnt(0) lgkmcnt(0)
	v_pk_mul_f32 v[18:19], v[12:13], v[10:11] op_sel:[1,1] op_sel_hi:[0,1]
	v_pk_fma_f32 v[20:21], v[12:13], v[10:11], v[18:19] neg_lo:[0,0,1] neg_hi:[0,0,1]
	v_pk_fma_f32 v[10:11], v[12:13], v[10:11], v[18:19] op_sel_hi:[1,0,1]
	s_nop 0
	v_mov_b32_e32 v21, v11
	v_pk_add_f32 v[10:11], v[14:15], v[20:21] neg_lo:[0,1] neg_hi:[0,1]
	ds_write_b64 v1, v[10:11]
	s_branch .LBB13_156
.LBB13_167:                             ;   in Loop: Header=BB13_153 Depth=1
	s_add_i32 s43, s30, 0xfffffe00
	s_cmp_lt_i32 s30, 1
	s_cselect_b64 s[2:3], -1, 0
	s_and_b64 vcc, exec, s[2:3]
	s_waitcnt lgkmcnt(0)
	s_barrier
	s_cbranch_vccnz .LBB13_187
; %bb.168:                              ;   in Loop: Header=BB13_153 Depth=1
	s_mul_i32 s20, s27, s30
	s_mul_hi_u32 s21, s26, s30
	s_add_i32 s21, s21, s20
	s_mul_i32 s20, s26, s30
	s_add_u32 s20, s7, s20
	s_addc_u32 s21, s42, s21
	s_mov_b64 s[28:29], 0
	v_mov_b32_e32 v6, v16
	v_mov_b32_e32 v3, v0
	s_mov_b32 s44, s43
                                        ; implicit-def: $sgpr30_sgpr31
	s_branch .LBB13_171
.LBB13_169:                             ;   in Loop: Header=BB13_171 Depth=2
	v_mad_u64_u32 v[10:11], s[36:37], s8, v4, 0
	v_mov_b32_e32 v12, v11
	v_mad_u64_u32 v[12:13], s[36:37], s9, v4, v[12:13]
	v_mov_b32_e32 v11, v12
	v_lshl_add_u64 v[10:11], v[10:11], 3, s[16:17]
	flat_load_dwordx2 v[12:13], v[10:11]
	s_add_i32 s38, s44, 0xfffffe00
	s_cmp_lt_i32 s44, 1
	s_cselect_b64 s[36:37], -1, 0
	s_andn2_b64 s[30:31], s[30:31], exec
	s_and_b64 s[36:37], s[36:37], exec
	v_add_u32_e32 v6, 0xfffffe00, v6
	s_or_b64 s[30:31], s[30:31], s[36:37]
	s_mov_b32 s44, s38
	s_waitcnt vmcnt(0) lgkmcnt(0)
	v_pk_add_f32 v[8:9], v[12:13], v[8:9] neg_lo:[0,1] neg_hi:[0,1]
	flat_store_dwordx2 v[10:11], v[8:9]
.LBB13_170:                             ;   in Loop: Header=BB13_171 Depth=2
	s_or_b64 exec, exec, s[34:35]
	s_and_b64 s[34:35], exec, s[30:31]
	s_or_b64 s[28:29], s[34:35], s[28:29]
	s_andn2_b64 exec, exec, s[28:29]
	s_cbranch_execz .LBB13_186
.LBB13_171:                             ;   Parent Loop BB13_153 Depth=1
                                        ; =>  This Loop Header: Depth=2
                                        ;       Child Loop BB13_174 Depth 3
	v_add_u32_e32 v4, s44, v0
	v_cmp_lt_i32_e32 vcc, -1, v4
	s_or_b64 s[30:31], s[30:31], exec
	s_and_saveexec_b64 s[34:35], vcc
	s_cbranch_execz .LBB13_170
; %bb.172:                              ;   in Loop: Header=BB13_171 Depth=2
	v_mov_b32_e32 v7, v5
	v_lshl_add_u64 v[10:11], v[6:7], 3, s[20:21]
	v_lshl_add_u64 v[12:13], v[4:5], 3, s[14:15]
	v_add_u32_e32 v7, s6, v4
	v_add_u32_e32 v14, 0xfffffdff, v3
	;; [unrolled: 1-line block ×3, first 2 shown]
	v_mov_b32_e32 v8, v5
	v_mov_b32_e32 v9, v5
	s_mov_b32 s45, 0
	s_movk_i32 s46, 0x2000
	s_mov_b32 s36, s33
	s_branch .LBB13_174
.LBB13_173:                             ;   in Loop: Header=BB13_174 Depth=3
	s_or_b64 exec, exec, s[38:39]
	s_add_i32 s45, s45, 2
	s_add_i32 s46, s46, 16
	s_add_i32 s36, s36, -2
	s_cmpk_eq_i32 s45, 0x200
	v_lshl_add_u64 v[10:11], v[10:11], 0, s[10:11]
	s_cbranch_scc1 .LBB13_169
.LBB13_174:                             ;   Parent Loop BB13_153 Depth=1
                                        ;     Parent Loop BB13_171 Depth=2
                                        ; =>    This Inner Loop Header: Depth=3
	v_cmp_ne_u32_e32 vcc, s45, v3
	s_add_i32 s37, s5, s45
	s_or_b64 s[38:39], s[18:19], vcc
	s_and_saveexec_b64 s[40:41], s[38:39]
	s_xor_b64 s[38:39], exec, s[40:41]
	s_cbranch_execz .LBB13_178
; %bb.175:                              ;   in Loop: Header=BB13_174 Depth=3
	s_add_i32 s40, s37, 0xfffffe00
	v_cmp_le_i32_e32 vcc, s40, v7
	s_and_saveexec_b64 s[40:41], vcc
	s_cbranch_execz .LBB13_177
; %bb.176:                              ;   in Loop: Header=BB13_174 Depth=3
	flat_load_dwordx2 v[18:19], v[10:11]
	v_mov_b32_e32 v15, s46
	ds_read_b64 v[20:21], v15
	s_waitcnt vmcnt(0) lgkmcnt(0)
	v_pk_mul_f32 v[22:23], v[20:21], v[18:19] op_sel:[1,1] op_sel_hi:[0,1]
	v_pk_fma_f32 v[24:25], v[20:21], v[18:19], v[22:23] neg_lo:[0,0,1] neg_hi:[0,0,1]
	v_pk_fma_f32 v[18:19], v[20:21], v[18:19], v[22:23] op_sel_hi:[1,0,1]
	s_nop 0
	v_mov_b32_e32 v25, v19
	v_pk_add_f32 v[8:9], v[8:9], v[24:25]
.LBB13_177:                             ;   in Loop: Header=BB13_174 Depth=3
	s_or_b64 exec, exec, s[40:41]
.LBB13_178:                             ;   in Loop: Header=BB13_174 Depth=3
	s_andn2_saveexec_b64 s[38:39], s[38:39]
	s_cbranch_execz .LBB13_180
; %bb.179:                              ;   in Loop: Header=BB13_174 Depth=3
	v_mov_b32_e32 v15, s46
	ds_read_b64 v[18:19], v15
	s_waitcnt lgkmcnt(0)
	v_pk_add_f32 v[8:9], v[8:9], v[18:19]
.LBB13_180:                             ;   in Loop: Header=BB13_174 Depth=3
	s_or_b64 exec, exec, s[38:39]
	v_cmp_ne_u32_e32 vcc, s45, v14
	s_or_b64 s[38:39], s[18:19], vcc
	s_and_saveexec_b64 s[40:41], s[38:39]
	s_xor_b64 s[38:39], exec, s[40:41]
	s_cbranch_execz .LBB13_184
; %bb.181:                              ;   in Loop: Header=BB13_174 Depth=3
	s_addk_i32 s37, 0xfe01
	v_cmp_le_i32_e32 vcc, s37, v7
	s_and_saveexec_b64 s[40:41], vcc
	s_cbranch_execz .LBB13_183
; %bb.182:                              ;   in Loop: Header=BB13_174 Depth=3
	s_mul_i32 s47, s13, s37
	s_mul_hi_u32 s48, s12, s37
	s_add_i32 s49, s48, s47
	s_mul_i32 s48, s12, s37
	s_ashr_i32 s37, s36, 31
	v_lshl_add_u64 v[18:19], s[48:49], 3, v[12:13]
	v_lshl_add_u64 v[18:19], s[36:37], 3, v[18:19]
	flat_load_dwordx2 v[18:19], v[18:19]
	v_mov_b32_e32 v15, s46
	ds_read_b64 v[20:21], v15 offset:8
	s_waitcnt vmcnt(0) lgkmcnt(0)
	v_pk_mul_f32 v[22:23], v[20:21], v[18:19] op_sel:[1,1] op_sel_hi:[0,1]
	v_pk_fma_f32 v[24:25], v[20:21], v[18:19], v[22:23] neg_lo:[0,0,1] neg_hi:[0,0,1]
	v_pk_fma_f32 v[18:19], v[20:21], v[18:19], v[22:23] op_sel_hi:[1,0,1]
	s_nop 0
	v_mov_b32_e32 v25, v19
	v_pk_add_f32 v[8:9], v[8:9], v[24:25]
.LBB13_183:                             ;   in Loop: Header=BB13_174 Depth=3
	s_or_b64 exec, exec, s[40:41]
.LBB13_184:                             ;   in Loop: Header=BB13_174 Depth=3
	s_andn2_saveexec_b64 s[38:39], s[38:39]
	s_cbranch_execz .LBB13_173
; %bb.185:                              ;   in Loop: Header=BB13_174 Depth=3
	v_mov_b32_e32 v15, s46
	ds_read_b64 v[18:19], v15 offset:8
	s_waitcnt lgkmcnt(0)
	v_pk_add_f32 v[8:9], v[8:9], v[18:19]
	s_branch .LBB13_173
.LBB13_186:                             ;   in Loop: Header=BB13_153 Depth=1
	s_or_b64 exec, exec, s[28:29]
.LBB13_187:                             ;   in Loop: Header=BB13_153 Depth=1
	s_and_saveexec_b64 s[20:21], s[0:1]
	s_cbranch_execz .LBB13_152
; %bb.188:                              ;   in Loop: Header=BB13_153 Depth=1
	v_mad_u64_u32 v[6:7], s[0:1], s8, v17, 0
	ds_read_b64 v[8:9], v1
	v_mov_b32_e32 v4, v7
	v_mad_u64_u32 v[10:11], s[0:1], s9, v17, v[4:5]
	v_mov_b32_e32 v7, v10
	v_lshl_add_u64 v[6:7], v[6:7], 3, s[16:17]
	s_waitcnt lgkmcnt(0)
	flat_store_dwordx2 v[6:7], v[8:9]
	s_branch .LBB13_152
.LBB13_189:
	s_endpgm
	.section	.rodata,"a",@progbits
	.p2align	6, 0x0
	.amdhsa_kernel _ZL19rocblas_tbsv_kernelILb0ELi512EPKPK19rocblas_complex_numIfEPKPS1_Ev18rocblas_operation_bbiiT1_lllT2_lll
		.amdhsa_group_segment_fixed_size 16384
		.amdhsa_private_segment_fixed_size 0
		.amdhsa_kernarg_size 80
		.amdhsa_user_sgpr_count 2
		.amdhsa_user_sgpr_dispatch_ptr 0
		.amdhsa_user_sgpr_queue_ptr 0
		.amdhsa_user_sgpr_kernarg_segment_ptr 1
		.amdhsa_user_sgpr_dispatch_id 0
		.amdhsa_user_sgpr_kernarg_preload_length 0
		.amdhsa_user_sgpr_kernarg_preload_offset 0
		.amdhsa_user_sgpr_private_segment_size 0
		.amdhsa_uses_dynamic_stack 0
		.amdhsa_enable_private_segment 0
		.amdhsa_system_sgpr_workgroup_id_x 1
		.amdhsa_system_sgpr_workgroup_id_y 0
		.amdhsa_system_sgpr_workgroup_id_z 0
		.amdhsa_system_sgpr_workgroup_info 0
		.amdhsa_system_vgpr_workitem_id 0
		.amdhsa_next_free_vgpr 30
		.amdhsa_next_free_sgpr 68
		.amdhsa_accum_offset 32
		.amdhsa_reserve_vcc 1
		.amdhsa_float_round_mode_32 0
		.amdhsa_float_round_mode_16_64 0
		.amdhsa_float_denorm_mode_32 3
		.amdhsa_float_denorm_mode_16_64 3
		.amdhsa_dx10_clamp 1
		.amdhsa_ieee_mode 1
		.amdhsa_fp16_overflow 0
		.amdhsa_tg_split 0
		.amdhsa_exception_fp_ieee_invalid_op 0
		.amdhsa_exception_fp_denorm_src 0
		.amdhsa_exception_fp_ieee_div_zero 0
		.amdhsa_exception_fp_ieee_overflow 0
		.amdhsa_exception_fp_ieee_underflow 0
		.amdhsa_exception_fp_ieee_inexact 0
		.amdhsa_exception_int_div_zero 0
	.end_amdhsa_kernel
	.section	.text._ZL19rocblas_tbsv_kernelILb0ELi512EPKPK19rocblas_complex_numIfEPKPS1_Ev18rocblas_operation_bbiiT1_lllT2_lll,"axG",@progbits,_ZL19rocblas_tbsv_kernelILb0ELi512EPKPK19rocblas_complex_numIfEPKPS1_Ev18rocblas_operation_bbiiT1_lllT2_lll,comdat
.Lfunc_end13:
	.size	_ZL19rocblas_tbsv_kernelILb0ELi512EPKPK19rocblas_complex_numIfEPKPS1_Ev18rocblas_operation_bbiiT1_lllT2_lll, .Lfunc_end13-_ZL19rocblas_tbsv_kernelILb0ELi512EPKPK19rocblas_complex_numIfEPKPS1_Ev18rocblas_operation_bbiiT1_lllT2_lll
                                        ; -- End function
	.set _ZL19rocblas_tbsv_kernelILb0ELi512EPKPK19rocblas_complex_numIfEPKPS1_Ev18rocblas_operation_bbiiT1_lllT2_lll.num_vgpr, 30
	.set _ZL19rocblas_tbsv_kernelILb0ELi512EPKPK19rocblas_complex_numIfEPKPS1_Ev18rocblas_operation_bbiiT1_lllT2_lll.num_agpr, 0
	.set _ZL19rocblas_tbsv_kernelILb0ELi512EPKPK19rocblas_complex_numIfEPKPS1_Ev18rocblas_operation_bbiiT1_lllT2_lll.numbered_sgpr, 68
	.set _ZL19rocblas_tbsv_kernelILb0ELi512EPKPK19rocblas_complex_numIfEPKPS1_Ev18rocblas_operation_bbiiT1_lllT2_lll.num_named_barrier, 0
	.set _ZL19rocblas_tbsv_kernelILb0ELi512EPKPK19rocblas_complex_numIfEPKPS1_Ev18rocblas_operation_bbiiT1_lllT2_lll.private_seg_size, 0
	.set _ZL19rocblas_tbsv_kernelILb0ELi512EPKPK19rocblas_complex_numIfEPKPS1_Ev18rocblas_operation_bbiiT1_lllT2_lll.uses_vcc, 1
	.set _ZL19rocblas_tbsv_kernelILb0ELi512EPKPK19rocblas_complex_numIfEPKPS1_Ev18rocblas_operation_bbiiT1_lllT2_lll.uses_flat_scratch, 0
	.set _ZL19rocblas_tbsv_kernelILb0ELi512EPKPK19rocblas_complex_numIfEPKPS1_Ev18rocblas_operation_bbiiT1_lllT2_lll.has_dyn_sized_stack, 0
	.set _ZL19rocblas_tbsv_kernelILb0ELi512EPKPK19rocblas_complex_numIfEPKPS1_Ev18rocblas_operation_bbiiT1_lllT2_lll.has_recursion, 0
	.set _ZL19rocblas_tbsv_kernelILb0ELi512EPKPK19rocblas_complex_numIfEPKPS1_Ev18rocblas_operation_bbiiT1_lllT2_lll.has_indirect_call, 0
	.section	.AMDGPU.csdata,"",@progbits
; Kernel info:
; codeLenInByte = 7492
; TotalNumSgprs: 74
; NumVgprs: 30
; NumAgprs: 0
; TotalNumVgprs: 30
; ScratchSize: 0
; MemoryBound: 0
; FloatMode: 240
; IeeeMode: 1
; LDSByteSize: 16384 bytes/workgroup (compile time only)
; SGPRBlocks: 9
; VGPRBlocks: 3
; NumSGPRsForWavesPerEU: 74
; NumVGPRsForWavesPerEU: 30
; AccumOffset: 32
; Occupancy: 8
; WaveLimiterHint : 1
; COMPUTE_PGM_RSRC2:SCRATCH_EN: 0
; COMPUTE_PGM_RSRC2:USER_SGPR: 2
; COMPUTE_PGM_RSRC2:TRAP_HANDLER: 0
; COMPUTE_PGM_RSRC2:TGID_X_EN: 1
; COMPUTE_PGM_RSRC2:TGID_Y_EN: 0
; COMPUTE_PGM_RSRC2:TGID_Z_EN: 0
; COMPUTE_PGM_RSRC2:TIDIG_COMP_CNT: 0
; COMPUTE_PGM_RSRC3_GFX90A:ACCUM_OFFSET: 7
; COMPUTE_PGM_RSRC3_GFX90A:TG_SPLIT: 0
	.section	.text._ZL19rocblas_tbsv_kernelILb1ELi512EPKPK19rocblas_complex_numIdEPKPS1_Ev18rocblas_operation_bbiiT1_lllT2_lll,"axG",@progbits,_ZL19rocblas_tbsv_kernelILb1ELi512EPKPK19rocblas_complex_numIdEPKPS1_Ev18rocblas_operation_bbiiT1_lllT2_lll,comdat
	.globl	_ZL19rocblas_tbsv_kernelILb1ELi512EPKPK19rocblas_complex_numIdEPKPS1_Ev18rocblas_operation_bbiiT1_lllT2_lll ; -- Begin function _ZL19rocblas_tbsv_kernelILb1ELi512EPKPK19rocblas_complex_numIdEPKPS1_Ev18rocblas_operation_bbiiT1_lllT2_lll
	.p2align	8
	.type	_ZL19rocblas_tbsv_kernelILb1ELi512EPKPK19rocblas_complex_numIdEPKPS1_Ev18rocblas_operation_bbiiT1_lllT2_lll,@function
_ZL19rocblas_tbsv_kernelILb1ELi512EPKPK19rocblas_complex_numIdEPKPS1_Ev18rocblas_operation_bbiiT1_lllT2_lll: ; @_ZL19rocblas_tbsv_kernelILb1ELi512EPKPK19rocblas_complex_numIdEPKPS1_Ev18rocblas_operation_bbiiT1_lllT2_lll
; %bb.0:
	s_load_dwordx2 s[34:35], s[0:1], 0x0
	s_load_dwordx4 s[4:7], s[0:1], 0x4
	s_load_dwordx4 s[8:11], s[0:1], 0x10
	s_load_dwordx2 s[12:13], s[0:1], 0x20
	s_mov_b32 s3, 0
	s_waitcnt lgkmcnt(0)
	s_bitcmp1_b32 s35, 0
	s_cselect_b64 s[14:15], -1, 0
	s_xor_b64 s[26:27], s[14:15], -1
	s_bitcmp1_b32 s4, 8
	s_cselect_b64 s[18:19], -1, 0
	s_lshl_b64 s[2:3], s[2:3], 3
	s_add_u32 s14, s8, s2
	s_addc_u32 s15, s9, s3
	s_load_dwordx2 s[20:21], s[14:15], 0x0
	s_load_dwordx4 s[28:31], s[0:1], 0x30
	s_load_dwordx2 s[8:9], s[0:1], 0x40
	s_lshl_b64 s[22:23], s[10:11], 4
	s_waitcnt lgkmcnt(0)
	s_add_u32 s14, s20, s22
	s_addc_u32 s15, s21, s23
	s_add_u32 s0, s28, s2
	s_addc_u32 s1, s29, s3
	s_load_dwordx2 s[0:1], s[0:1], 0x0
	s_lshl_b64 s[2:3], s[30:31], 4
	s_waitcnt lgkmcnt(0)
	s_add_u32 s16, s0, s2
	s_addc_u32 s17, s1, s3
	s_cmp_gt_i32 s5, 0
	s_cselect_b64 s[24:25], -1, 0
	s_cmpk_lg_i32 s34, 0x6f
	s_mov_b64 s[0:1], -1
	s_cbranch_scc0 .LBB14_107
; %bb.1:
	s_and_b64 vcc, exec, s[26:27]
	s_cbranch_vccz .LBB14_54
; %bb.2:
	s_andn2_b64 vcc, exec, s[24:25]
	s_cbranch_vccnz .LBB14_53
; %bb.3:
	s_ashr_i32 s1, s5, 31
	s_mov_b32 s0, s5
	s_add_i32 s42, s5, 0xfffffe00
	s_add_i32 s4, s5, -1
	s_lshl_b64 s[0:1], s[0:1], 4
	s_add_u32 s0, s22, s0
	s_addc_u32 s1, s23, s1
	s_add_u32 s0, s20, s0
	s_addc_u32 s1, s21, s1
	v_mov_b32_e32 v1, 0x6000
	s_add_u32 s28, s0, 0xffffe000
	v_add_u32_e32 v2, s5, v0
	v_lshl_or_b32 v1, v0, 4, v1
	v_sub_u32_e32 v18, 0, v0
	s_addc_u32 s29, s1, -1
	v_add_u32_e32 v19, 0xfffffc00, v2
	s_lshl_b64 s[30:31], s[12:13], 4
	s_xor_b64 s[34:35], s[18:19], -1
	v_mov_b32_e32 v15, 0
	s_mov_b64 s[36:37], 0x2000
	s_mov_b32 s7, s5
	s_branch .LBB14_5
.LBB14_4:                               ;   in Loop: Header=BB14_5 Depth=1
	s_or_b64 exec, exec, s[38:39]
	s_addk_i32 s4, 0xfe00
	s_addk_i32 s7, 0xfe00
	s_add_u32 s28, s28, 0xffffe000
	s_addc_u32 s29, s29, -1
	v_add_u32_e32 v19, 0xfffffe00, v19
	s_andn2_b64 vcc, exec, s[2:3]
	s_mov_b32 s42, s33
	s_waitcnt lgkmcnt(0)
	s_barrier
	s_cbranch_vccz .LBB14_53
.LBB14_5:                               ; =>This Loop Header: Depth=1
                                        ;     Child Loop BB14_10 Depth 2
                                        ;     Child Loop BB14_23 Depth 2
                                        ;       Child Loop BB14_26 Depth 3
	v_add_u32_e32 v20, s42, v0
	v_cmp_gt_i32_e32 vcc, 0, v20
	v_cmp_lt_i32_e64 s[0:1], -1, v20
	s_and_saveexec_b64 s[2:3], s[0:1]
	s_cbranch_execz .LBB14_7
; %bb.6:                                ;   in Loop: Header=BB14_5 Depth=1
	v_mad_u64_u32 v[2:3], s[38:39], s8, v20, 0
	v_mov_b32_e32 v4, v3
	v_mad_u64_u32 v[4:5], s[38:39], s9, v20, v[4:5]
	v_mov_b32_e32 v3, v4
	v_lshl_add_u64 v[2:3], v[2:3], 4, s[16:17]
	flat_load_dwordx4 v[2:5], v[2:3]
	s_waitcnt vmcnt(0) lgkmcnt(0)
	ds_write2_b64 v1, v[2:3], v[4:5] offset1:1
.LBB14_7:                               ;   in Loop: Header=BB14_5 Depth=1
	s_or_b64 exec, exec, s[2:3]
	v_ashrrev_i32_e32 v2, 31, v20
	v_mul_lo_u32 v4, s13, v20
	v_mul_lo_u32 v5, s12, v2
	v_mad_u64_u32 v[2:3], s[2:3], s12, v20, 0
	v_add3_u32 v3, v3, v5, v4
	v_add_u32_e32 v21, s6, v20
	v_lshl_add_u64 v[16:17], v[2:3], 4, s[14:15]
	s_movk_i32 s33, 0x1ff
	s_movk_i32 s43, 0x7ff0
	s_xor_b64 s[38:39], vcc, -1
	s_waitcnt lgkmcnt(0)
	s_barrier
	s_branch .LBB14_10
.LBB14_8:                               ;   in Loop: Header=BB14_10 Depth=2
	s_or_b64 exec, exec, s[2:3]
	s_add_i32 s33, s33, -1
	s_add_i32 s43, s43, -16
	s_cmp_eq_u32 s33, -1
	s_cselect_b64 s[2:3], -1, 0
.LBB14_9:                               ;   in Loop: Header=BB14_10 Depth=2
	s_and_b64 vcc, exec, s[2:3]
	s_cbranch_vccnz .LBB14_19
.LBB14_10:                              ;   Parent Loop BB14_5 Depth=1
                                        ; =>  This Inner Loop Header: Depth=2
	s_add_i32 s44, s4, s33
	s_addk_i32 s44, 0xfe01
	s_cmp_lt_i32 s44, 0
	s_mov_b64 s[2:3], -1
	s_cbranch_scc1 .LBB14_9
; %bb.11:                               ;   in Loop: Header=BB14_10 Depth=2
	v_add_u32_e32 v14, s33, v18
	v_cmp_eq_u32_e32 vcc, 0, v14
	s_and_b64 s[40:41], s[34:35], vcc
	s_and_saveexec_b64 s[2:3], s[40:41]
	s_cbranch_execz .LBB14_17
; %bb.12:                               ;   in Loop: Header=BB14_10 Depth=2
	s_mul_i32 s40, s13, s44
	s_mul_hi_u32 s41, s12, s44
	s_add_i32 s41, s41, s40
	s_mul_i32 s40, s12, s44
	s_lshl_b64 s[40:41], s[40:41], 4
	s_add_u32 s40, s14, s40
	s_addc_u32 s41, s15, s41
	v_mov_b64_e32 v[2:3], s[40:41]
	flat_load_dwordx4 v[6:9], v[2:3]
	ds_read_b128 v[2:5], v1
                                        ; implicit-def: $vgpr10_vgpr11
	s_waitcnt vmcnt(0) lgkmcnt(0)
	v_cmp_ngt_f64_e64 s[40:41], |v[6:7]|, |v[8:9]|
	s_and_saveexec_b64 s[46:47], s[40:41]
	s_xor_b64 s[40:41], exec, s[46:47]
	s_cbranch_execz .LBB14_14
; %bb.13:                               ;   in Loop: Header=BB14_10 Depth=2
	v_div_scale_f64 v[10:11], s[46:47], -v[8:9], -v[8:9], v[6:7]
	v_rcp_f64_e32 v[12:13], v[10:11]
	v_div_scale_f64 v[22:23], vcc, v[6:7], -v[8:9], v[6:7]
	v_fma_f64 v[24:25], -v[10:11], v[12:13], 1.0
	v_fmac_f64_e32 v[12:13], v[12:13], v[24:25]
	v_fma_f64 v[24:25], -v[10:11], v[12:13], 1.0
	v_fmac_f64_e32 v[12:13], v[12:13], v[24:25]
	v_mul_f64 v[24:25], v[22:23], v[12:13]
	v_fma_f64 v[10:11], -v[10:11], v[24:25], v[22:23]
	v_div_fmas_f64 v[10:11], v[10:11], v[12:13], v[24:25]
	v_div_fixup_f64 v[12:13], v[10:11], -v[8:9], v[6:7]
	v_fma_f64 v[6:7], v[6:7], v[12:13], -v[8:9]
	v_div_scale_f64 v[8:9], s[46:47], v[6:7], v[6:7], 1.0
	v_rcp_f64_e32 v[10:11], v[8:9]
	s_nop 0
	v_fma_f64 v[22:23], -v[8:9], v[10:11], 1.0
	v_fmac_f64_e32 v[10:11], v[10:11], v[22:23]
	v_fma_f64 v[22:23], -v[8:9], v[10:11], 1.0
	v_fmac_f64_e32 v[10:11], v[10:11], v[22:23]
	v_div_scale_f64 v[22:23], vcc, 1.0, v[6:7], 1.0
	v_mul_f64 v[24:25], v[22:23], v[10:11]
	v_fma_f64 v[8:9], -v[8:9], v[24:25], v[22:23]
	s_nop 1
	v_div_fmas_f64 v[8:9], v[8:9], v[10:11], v[24:25]
	v_div_fixup_f64 v[6:7], v[8:9], v[6:7], 1.0
	v_fma_f64 v[8:9], v[12:13], v[2:3], v[4:5]
	v_fma_f64 v[2:3], v[12:13], v[4:5], -v[2:3]
	v_mul_f64 v[10:11], v[8:9], v[6:7]
	v_mul_f64 v[12:13], v[6:7], v[2:3]
                                        ; implicit-def: $vgpr6_vgpr7
                                        ; implicit-def: $vgpr4_vgpr5
.LBB14_14:                              ;   in Loop: Header=BB14_10 Depth=2
	s_andn2_saveexec_b64 s[40:41], s[40:41]
	s_cbranch_execz .LBB14_16
; %bb.15:                               ;   in Loop: Header=BB14_10 Depth=2
	v_div_scale_f64 v[10:11], s[46:47], v[6:7], v[6:7], -v[8:9]
	v_rcp_f64_e32 v[12:13], v[10:11]
	v_div_scale_f64 v[22:23], vcc, -v[8:9], v[6:7], -v[8:9]
	v_fma_f64 v[24:25], -v[10:11], v[12:13], 1.0
	v_fmac_f64_e32 v[12:13], v[12:13], v[24:25]
	v_fma_f64 v[24:25], -v[10:11], v[12:13], 1.0
	v_fmac_f64_e32 v[12:13], v[12:13], v[24:25]
	v_mul_f64 v[24:25], v[22:23], v[12:13]
	v_fma_f64 v[10:11], -v[10:11], v[24:25], v[22:23]
	v_div_fmas_f64 v[10:11], v[10:11], v[12:13], v[24:25]
	v_div_fixup_f64 v[12:13], v[10:11], v[6:7], -v[8:9]
	v_fma_f64 v[6:7], -v[8:9], v[12:13], v[6:7]
	v_div_scale_f64 v[8:9], s[46:47], v[6:7], v[6:7], 1.0
	v_rcp_f64_e32 v[10:11], v[8:9]
	s_nop 0
	v_fma_f64 v[22:23], -v[8:9], v[10:11], 1.0
	v_fmac_f64_e32 v[10:11], v[10:11], v[22:23]
	v_fma_f64 v[22:23], -v[8:9], v[10:11], 1.0
	v_fmac_f64_e32 v[10:11], v[10:11], v[22:23]
	v_div_scale_f64 v[22:23], vcc, 1.0, v[6:7], 1.0
	v_mul_f64 v[24:25], v[22:23], v[10:11]
	v_fma_f64 v[8:9], -v[8:9], v[24:25], v[22:23]
	s_nop 1
	v_div_fmas_f64 v[8:9], v[8:9], v[10:11], v[24:25]
	v_div_fixup_f64 v[6:7], v[8:9], v[6:7], 1.0
	v_fma_f64 v[8:9], v[12:13], v[4:5], v[2:3]
	v_fma_f64 v[2:3], -v[12:13], v[2:3], v[4:5]
	v_mul_f64 v[10:11], v[6:7], v[8:9]
	v_mul_f64 v[12:13], v[2:3], v[6:7]
.LBB14_16:                              ;   in Loop: Header=BB14_10 Depth=2
	s_or_b64 exec, exec, s[40:41]
	ds_write_b128 v1, v[10:13]
.LBB14_17:                              ;   in Loop: Header=BB14_10 Depth=2
	s_or_b64 exec, exec, s[2:3]
	v_cmp_gt_u32_e32 vcc, s33, v0
	v_cmp_le_i32_e64 s[2:3], s44, v21
	s_and_b64 s[40:41], s[38:39], vcc
	s_and_b64 s[40:41], s[40:41], s[2:3]
	s_waitcnt lgkmcnt(0)
	s_barrier
	s_and_saveexec_b64 s[2:3], s[40:41]
	s_cbranch_execz .LBB14_8
; %bb.18:                               ;   in Loop: Header=BB14_10 Depth=2
	v_lshl_add_u64 v[2:3], v[14:15], 4, v[16:17]
	flat_load_dwordx4 v[2:5], v[2:3]
	v_mov_b32_e32 v6, s43
	ds_read_b128 v[6:9], v6
	ds_read_b128 v[10:13], v1
	s_waitcnt vmcnt(0) lgkmcnt(0)
	v_mul_f64 v[22:23], v[4:5], v[8:9]
	v_mul_f64 v[4:5], v[4:5], v[6:7]
	v_fmac_f64_e32 v[22:23], v[2:3], v[6:7]
	v_fma_f64 v[4:5], v[2:3], v[8:9], -v[4:5]
	v_add_f64 v[2:3], v[10:11], -v[22:23]
	v_add_f64 v[4:5], v[12:13], -v[4:5]
	ds_write_b128 v1, v[2:5]
	s_branch .LBB14_8
.LBB14_19:                              ;   in Loop: Header=BB14_5 Depth=1
	s_add_i32 s33, s42, 0xfffffe00
	s_cmp_lt_i32 s42, 1
	s_cselect_b64 s[2:3], -1, 0
	s_and_b64 vcc, exec, s[2:3]
	s_waitcnt lgkmcnt(0)
	s_barrier
	s_cbranch_vccnz .LBB14_51
; %bb.20:                               ;   in Loop: Header=BB14_5 Depth=1
	v_mad_i64_i32 v[2:3], s[38:39], v19, -16, s[28:29]
	s_mov_b64 s[38:39], 0
	v_mov_b32_e32 v10, v19
	v_mov_b32_e32 v11, v0
	s_mov_b32 s48, s33
                                        ; implicit-def: $sgpr40_sgpr41
	s_branch .LBB14_23
.LBB14_21:                              ;   in Loop: Header=BB14_23 Depth=2
	v_mad_u64_u32 v[8:9], s[44:45], s8, v12, 0
	v_mov_b32_e32 v14, v9
	v_mad_u64_u32 v[12:13], s[44:45], s9, v12, v[14:15]
	v_mov_b32_e32 v9, v12
	v_lshl_add_u64 v[12:13], v[8:9], 4, s[16:17]
	flat_load_dwordx4 v[22:25], v[12:13]
	s_add_i32 s46, s48, 0xfffffe00
	s_cmp_lt_i32 s48, 1
	s_cselect_b64 s[44:45], -1, 0
	s_andn2_b64 s[40:41], s[40:41], exec
	s_and_b64 s[44:45], s[44:45], exec
	v_lshl_add_u64 v[2:3], v[2:3], 0, s[36:37]
	v_add_u32_e32 v10, 0xfffffe00, v10
	s_or_b64 s[40:41], s[40:41], s[44:45]
	s_mov_b32 s48, s46
	s_waitcnt vmcnt(0) lgkmcnt(0)
	v_add_f64 v[6:7], v[22:23], -v[6:7]
	v_add_f64 v[8:9], v[24:25], -v[4:5]
	flat_store_dwordx4 v[12:13], v[6:9]
.LBB14_22:                              ;   in Loop: Header=BB14_23 Depth=2
	s_or_b64 exec, exec, s[42:43]
	s_and_b64 s[42:43], exec, s[40:41]
	s_or_b64 s[38:39], s[42:43], s[38:39]
	s_andn2_b64 exec, exec, s[38:39]
	s_cbranch_execz .LBB14_50
.LBB14_23:                              ;   Parent Loop BB14_5 Depth=1
                                        ; =>  This Loop Header: Depth=2
                                        ;       Child Loop BB14_26 Depth 3
	v_add_u32_e32 v12, s48, v0
	v_cmp_lt_i32_e32 vcc, -1, v12
	s_or_b64 s[40:41], s[40:41], exec
	s_and_saveexec_b64 s[42:43], vcc
	s_cbranch_execz .LBB14_22
; %bb.24:                               ;   in Loop: Header=BB14_23 Depth=2
	v_mad_u64_u32 v[8:9], s[44:45], s30, v10, v[2:3]
	v_mov_b32_e32 v4, v9
	v_mad_u64_u32 v[4:5], s[44:45], s31, v10, v[4:5]
	v_mov_b32_e32 v9, v4
	v_add_u32_e32 v13, s6, v12
	v_add_u32_e32 v14, 0xfffffdfd, v11
	;; [unrolled: 1-line block ×5, first 2 shown]
	v_mov_b64_e32 v[4:5], 0
	s_mov_b32 s49, 0
	s_movk_i32 s50, 0x6000
	v_mov_b64_e32 v[6:7], 0
	s_branch .LBB14_26
.LBB14_25:                              ;   in Loop: Header=BB14_26 Depth=3
	s_or_b64 exec, exec, s[44:45]
	s_add_i32 s49, s49, 4
	s_add_i32 s50, s50, 64
	s_cmpk_eq_i32 s49, 0x200
	v_lshl_add_u64 v[8:9], v[8:9], 0, 64
	s_cbranch_scc1 .LBB14_21
.LBB14_26:                              ;   Parent Loop BB14_5 Depth=1
                                        ;     Parent Loop BB14_23 Depth=2
                                        ; =>    This Inner Loop Header: Depth=3
	v_cmp_ne_u32_e32 vcc, s49, v11
	s_add_i32 s51, s7, s49
	s_or_b64 s[44:45], s[34:35], vcc
	s_and_saveexec_b64 s[46:47], s[44:45]
	s_xor_b64 s[44:45], exec, s[46:47]
	s_cbranch_execz .LBB14_30
; %bb.27:                               ;   in Loop: Header=BB14_26 Depth=3
	s_add_i32 s46, s51, 0xfffffe00
	v_cmp_le_i32_e32 vcc, s46, v13
	s_and_saveexec_b64 s[46:47], vcc
	s_cbranch_execz .LBB14_29
; %bb.28:                               ;   in Loop: Header=BB14_26 Depth=3
	flat_load_dwordx4 v[22:25], v[8:9]
	v_mov_b32_e32 v21, s50
	ds_read_b128 v[26:29], v21
	s_waitcnt vmcnt(0) lgkmcnt(0)
	v_mul_f64 v[30:31], v[24:25], v[28:29]
	v_mul_f64 v[24:25], v[24:25], v[26:27]
	v_fmac_f64_e32 v[30:31], v[22:23], v[26:27]
	v_fma_f64 v[22:23], v[22:23], v[28:29], -v[24:25]
	v_add_f64 v[6:7], v[6:7], v[30:31]
	v_add_f64 v[4:5], v[4:5], v[22:23]
.LBB14_29:                              ;   in Loop: Header=BB14_26 Depth=3
	s_or_b64 exec, exec, s[46:47]
.LBB14_30:                              ;   in Loop: Header=BB14_26 Depth=3
	s_andn2_saveexec_b64 s[44:45], s[44:45]
	s_cbranch_execz .LBB14_32
; %bb.31:                               ;   in Loop: Header=BB14_26 Depth=3
	v_mov_b32_e32 v21, s50
	ds_read_b128 v[22:25], v21
	s_waitcnt lgkmcnt(0)
	v_add_f64 v[6:7], v[6:7], v[22:23]
	v_add_f64 v[4:5], v[4:5], v[24:25]
.LBB14_32:                              ;   in Loop: Header=BB14_26 Depth=3
	s_or_b64 exec, exec, s[44:45]
	v_cmp_ne_u32_e32 vcc, s49, v17
	s_or_b64 s[44:45], s[34:35], vcc
	s_and_saveexec_b64 s[46:47], s[44:45]
	s_xor_b64 s[44:45], exec, s[46:47]
	s_cbranch_execz .LBB14_36
; %bb.33:                               ;   in Loop: Header=BB14_26 Depth=3
	s_add_i32 s46, s51, 0xfffffe01
	v_cmp_le_i32_e32 vcc, s46, v13
	s_and_saveexec_b64 s[46:47], vcc
	s_cbranch_execz .LBB14_35
; %bb.34:                               ;   in Loop: Header=BB14_26 Depth=3
	flat_load_dwordx4 v[22:25], v[8:9] offset:16
	v_mov_b32_e32 v21, s50
	ds_read_b128 v[26:29], v21 offset:16
	s_waitcnt vmcnt(0) lgkmcnt(0)
	v_mul_f64 v[30:31], v[24:25], v[28:29]
	v_mul_f64 v[24:25], v[24:25], v[26:27]
	v_fmac_f64_e32 v[30:31], v[22:23], v[26:27]
	v_fma_f64 v[22:23], v[22:23], v[28:29], -v[24:25]
	v_add_f64 v[6:7], v[6:7], v[30:31]
	v_add_f64 v[4:5], v[4:5], v[22:23]
.LBB14_35:                              ;   in Loop: Header=BB14_26 Depth=3
	s_or_b64 exec, exec, s[46:47]
.LBB14_36:                              ;   in Loop: Header=BB14_26 Depth=3
	s_andn2_saveexec_b64 s[44:45], s[44:45]
	s_cbranch_execz .LBB14_38
; %bb.37:                               ;   in Loop: Header=BB14_26 Depth=3
	v_mov_b32_e32 v21, s50
	ds_read_b128 v[22:25], v21 offset:16
	s_waitcnt lgkmcnt(0)
	v_add_f64 v[6:7], v[6:7], v[22:23]
	v_add_f64 v[4:5], v[4:5], v[24:25]
.LBB14_38:                              ;   in Loop: Header=BB14_26 Depth=3
	s_or_b64 exec, exec, s[44:45]
	v_cmp_ne_u32_e32 vcc, s49, v16
	s_or_b64 s[44:45], s[34:35], vcc
	s_and_saveexec_b64 s[46:47], s[44:45]
	s_xor_b64 s[44:45], exec, s[46:47]
	s_cbranch_execz .LBB14_42
; %bb.39:                               ;   in Loop: Header=BB14_26 Depth=3
	s_add_i32 s46, s51, 0xfffffe02
	v_cmp_le_i32_e32 vcc, s46, v13
	s_and_saveexec_b64 s[46:47], vcc
	s_cbranch_execz .LBB14_41
; %bb.40:                               ;   in Loop: Header=BB14_26 Depth=3
	flat_load_dwordx4 v[22:25], v[8:9] offset:32
	v_mov_b32_e32 v21, s50
	ds_read_b128 v[26:29], v21 offset:32
	s_waitcnt vmcnt(0) lgkmcnt(0)
	v_mul_f64 v[30:31], v[24:25], v[28:29]
	v_mul_f64 v[24:25], v[24:25], v[26:27]
	v_fmac_f64_e32 v[30:31], v[22:23], v[26:27]
	v_fma_f64 v[22:23], v[22:23], v[28:29], -v[24:25]
	v_add_f64 v[6:7], v[6:7], v[30:31]
	v_add_f64 v[4:5], v[4:5], v[22:23]
.LBB14_41:                              ;   in Loop: Header=BB14_26 Depth=3
	s_or_b64 exec, exec, s[46:47]
.LBB14_42:                              ;   in Loop: Header=BB14_26 Depth=3
	s_andn2_saveexec_b64 s[44:45], s[44:45]
	s_cbranch_execz .LBB14_44
; %bb.43:                               ;   in Loop: Header=BB14_26 Depth=3
	v_mov_b32_e32 v21, s50
	ds_read_b128 v[22:25], v21 offset:32
	s_waitcnt lgkmcnt(0)
	v_add_f64 v[6:7], v[6:7], v[22:23]
	v_add_f64 v[4:5], v[4:5], v[24:25]
.LBB14_44:                              ;   in Loop: Header=BB14_26 Depth=3
	s_or_b64 exec, exec, s[44:45]
	v_cmp_ne_u32_e32 vcc, s49, v14
	s_or_b64 s[44:45], s[34:35], vcc
	s_and_saveexec_b64 s[46:47], s[44:45]
	s_xor_b64 s[44:45], exec, s[46:47]
	s_cbranch_execz .LBB14_48
; %bb.45:                               ;   in Loop: Header=BB14_26 Depth=3
	s_addk_i32 s51, 0xfe03
	v_cmp_le_i32_e32 vcc, s51, v13
	s_and_saveexec_b64 s[46:47], vcc
	s_cbranch_execz .LBB14_47
; %bb.46:                               ;   in Loop: Header=BB14_26 Depth=3
	flat_load_dwordx4 v[22:25], v[8:9] offset:48
	v_mov_b32_e32 v21, s50
	ds_read_b128 v[26:29], v21 offset:48
	s_waitcnt vmcnt(0) lgkmcnt(0)
	v_mul_f64 v[30:31], v[24:25], v[28:29]
	v_mul_f64 v[24:25], v[24:25], v[26:27]
	v_fmac_f64_e32 v[30:31], v[22:23], v[26:27]
	v_fma_f64 v[22:23], v[22:23], v[28:29], -v[24:25]
	v_add_f64 v[6:7], v[6:7], v[30:31]
	v_add_f64 v[4:5], v[4:5], v[22:23]
.LBB14_47:                              ;   in Loop: Header=BB14_26 Depth=3
	s_or_b64 exec, exec, s[46:47]
.LBB14_48:                              ;   in Loop: Header=BB14_26 Depth=3
	s_andn2_saveexec_b64 s[44:45], s[44:45]
	s_cbranch_execz .LBB14_25
; %bb.49:                               ;   in Loop: Header=BB14_26 Depth=3
	v_mov_b32_e32 v21, s50
	ds_read_b128 v[22:25], v21 offset:48
	s_waitcnt lgkmcnt(0)
	v_add_f64 v[6:7], v[6:7], v[22:23]
	v_add_f64 v[4:5], v[4:5], v[24:25]
	s_branch .LBB14_25
.LBB14_50:                              ;   in Loop: Header=BB14_5 Depth=1
	s_or_b64 exec, exec, s[38:39]
.LBB14_51:                              ;   in Loop: Header=BB14_5 Depth=1
	s_and_saveexec_b64 s[38:39], s[0:1]
	s_cbranch_execz .LBB14_4
; %bb.52:                               ;   in Loop: Header=BB14_5 Depth=1
	v_mad_u64_u32 v[6:7], s[0:1], s8, v20, 0
	ds_read2_b64 v[2:5], v1 offset1:1
	v_mov_b32_e32 v8, v7
	v_mad_u64_u32 v[8:9], s[0:1], s9, v20, v[8:9]
	v_mov_b32_e32 v7, v8
	v_lshl_add_u64 v[6:7], v[6:7], 4, s[16:17]
	s_waitcnt lgkmcnt(0)
	flat_store_dwordx4 v[6:7], v[2:5]
	s_branch .LBB14_4
.LBB14_53:
	s_mov_b64 s[0:1], 0
.LBB14_54:
	s_andn2_b64 vcc, exec, s[0:1]
	s_cbranch_vccnz .LBB14_106
; %bb.55:
	s_andn2_b64 vcc, exec, s[24:25]
	s_cbranch_vccnz .LBB14_106
; %bb.56:
	s_ashr_i32 s7, s6, 31
	s_lshl_b64 s[28:29], s[12:13], 4
	s_add_u32 s4, s28, -16
	s_addc_u32 s33, s29, -1
	s_lshl_b64 s[0:1], s[6:7], 4
	s_add_u32 s2, s20, s0
	s_addc_u32 s3, s21, s1
	s_add_u32 s2, s2, s22
	s_addc_u32 s3, s3, s23
	v_mov_b64_e32 v[2:3], s[2:3]
	v_mad_u64_u32 v[14:15], s[30:31], s4, v0, v[2:3]
	v_mov_b32_e32 v2, v15
	v_mad_u64_u32 v[2:3], s[30:31], s33, v0, v[2:3]
	s_lshl_b64 s[30:31], s[12:13], 13
	s_add_u32 s0, s22, s0
	s_addc_u32 s1, s23, s1
	s_add_u32 s34, s20, s0
	v_or_b32_e32 v22, 0x200, v0
	v_mov_b32_e32 v15, v2
	s_addc_u32 s35, s21, s1
	v_mad_u64_u32 v[2:3], s[0:1], s12, v22, 0
	v_mov_b32_e32 v4, v3
	s_add_u32 s36, s30, 0x2000
	v_mad_u64_u32 v[4:5], s[0:1], s13, v22, v[4:5]
	s_addc_u32 s37, s31, 0
	v_mov_b32_e32 v1, 0x2000
	v_mov_b32_e32 v3, v4
	s_add_u32 s38, s30, 0xffffe000
	v_lshl_or_b32 v1, v0, 4, v1
	v_lshl_add_u64 v[16:17], v[2:3], 4, s[2:3]
	s_addc_u32 s39, s31, -1
	s_mov_b32 s4, 0
	s_xor_b64 s[40:41], s[18:19], -1
	s_branch .LBB14_58
.LBB14_57:                              ;   in Loop: Header=BB14_58 Depth=1
	s_or_b64 exec, exec, s[42:43]
	s_add_u32 s34, s34, s30
	v_lshl_add_u64 v[14:15], v[14:15], 0, s[30:31]
	s_addc_u32 s35, s35, s31
	v_lshl_add_u64 v[16:17], v[16:17], 0, s[36:37]
	v_add_u32_e32 v22, 0x200, v22
	s_and_b64 vcc, exec, s[2:3]
	s_mov_b32 s4, s7
	s_waitcnt lgkmcnt(0)
	s_barrier
	s_cbranch_vccnz .LBB14_106
.LBB14_58:                              ; =>This Loop Header: Depth=1
                                        ;     Child Loop BB14_63 Depth 2
                                        ;     Child Loop BB14_76 Depth 2
                                        ;       Child Loop BB14_79 Depth 3
	v_add_u32_e32 v23, s4, v0
	v_cmp_le_i32_e32 vcc, s5, v23
	v_cmp_gt_i32_e64 s[0:1], s5, v23
	s_and_saveexec_b64 s[2:3], s[0:1]
	s_cbranch_execz .LBB14_60
; %bb.59:                               ;   in Loop: Header=BB14_58 Depth=1
	v_mad_u64_u32 v[2:3], s[42:43], s8, v23, 0
	v_mov_b32_e32 v4, v3
	v_mad_u64_u32 v[4:5], s[42:43], s9, v23, v[4:5]
	v_mov_b32_e32 v3, v4
	v_lshl_add_u64 v[2:3], v[2:3], 4, s[16:17]
	flat_load_dwordx4 v[2:5], v[2:3]
	s_waitcnt vmcnt(0) lgkmcnt(0)
	ds_write2_b64 v1, v[2:3], v[4:5] offset1:1
.LBB14_60:                              ;   in Loop: Header=BB14_58 Depth=1
	s_or_b64 exec, exec, s[2:3]
	v_subrev_u32_e32 v24, s6, v23
	s_mov_b32 s7, 0
	s_movk_i32 s33, 0x2000
	v_mov_b64_e32 v[18:19], s[34:35]
	s_xor_b64 s[42:43], vcc, -1
	v_mov_b64_e32 v[20:21], v[14:15]
	s_waitcnt lgkmcnt(0)
	s_barrier
	s_branch .LBB14_63
.LBB14_61:                              ;   in Loop: Header=BB14_63 Depth=2
	s_or_b64 exec, exec, s[2:3]
	s_add_i32 s7, s7, 1
	s_add_i32 s33, s33, 16
	s_cmpk_eq_i32 s7, 0x200
	v_lshl_add_u64 v[20:21], v[20:21], 0, 16
	v_lshl_add_u64 v[18:19], v[18:19], 0, s[28:29]
	s_cselect_b64 s[2:3], -1, 0
.LBB14_62:                              ;   in Loop: Header=BB14_63 Depth=2
	s_and_b64 vcc, exec, s[2:3]
	s_cbranch_vccnz .LBB14_72
.LBB14_63:                              ;   Parent Loop BB14_58 Depth=1
                                        ; =>  This Inner Loop Header: Depth=2
	s_add_i32 s46, s4, s7
	s_cmp_ge_i32 s46, s5
	s_mov_b64 s[2:3], -1
	s_cbranch_scc1 .LBB14_62
; %bb.64:                               ;   in Loop: Header=BB14_63 Depth=2
	v_cmp_eq_u32_e32 vcc, s7, v0
	s_and_b64 s[44:45], s[40:41], vcc
	s_and_saveexec_b64 s[2:3], s[44:45]
	s_cbranch_execz .LBB14_70
; %bb.65:                               ;   in Loop: Header=BB14_63 Depth=2
	flat_load_dwordx4 v[6:9], v[18:19]
	ds_read_b128 v[2:5], v1
                                        ; implicit-def: $vgpr10_vgpr11
	s_waitcnt vmcnt(0) lgkmcnt(0)
	v_cmp_ngt_f64_e64 s[44:45], |v[6:7]|, |v[8:9]|
	s_and_saveexec_b64 s[48:49], s[44:45]
	s_xor_b64 s[44:45], exec, s[48:49]
	s_cbranch_execz .LBB14_67
; %bb.66:                               ;   in Loop: Header=BB14_63 Depth=2
	v_div_scale_f64 v[10:11], s[48:49], -v[8:9], -v[8:9], v[6:7]
	v_rcp_f64_e32 v[12:13], v[10:11]
	v_div_scale_f64 v[26:27], vcc, v[6:7], -v[8:9], v[6:7]
	v_fma_f64 v[28:29], -v[10:11], v[12:13], 1.0
	v_fmac_f64_e32 v[12:13], v[12:13], v[28:29]
	v_fma_f64 v[28:29], -v[10:11], v[12:13], 1.0
	v_fmac_f64_e32 v[12:13], v[12:13], v[28:29]
	v_mul_f64 v[28:29], v[26:27], v[12:13]
	v_fma_f64 v[10:11], -v[10:11], v[28:29], v[26:27]
	v_div_fmas_f64 v[10:11], v[10:11], v[12:13], v[28:29]
	v_div_fixup_f64 v[12:13], v[10:11], -v[8:9], v[6:7]
	v_fma_f64 v[6:7], v[6:7], v[12:13], -v[8:9]
	v_div_scale_f64 v[8:9], s[48:49], v[6:7], v[6:7], 1.0
	v_rcp_f64_e32 v[10:11], v[8:9]
	s_nop 0
	v_fma_f64 v[26:27], -v[8:9], v[10:11], 1.0
	v_fmac_f64_e32 v[10:11], v[10:11], v[26:27]
	v_fma_f64 v[26:27], -v[8:9], v[10:11], 1.0
	v_fmac_f64_e32 v[10:11], v[10:11], v[26:27]
	v_div_scale_f64 v[26:27], vcc, 1.0, v[6:7], 1.0
	v_mul_f64 v[28:29], v[26:27], v[10:11]
	v_fma_f64 v[8:9], -v[8:9], v[28:29], v[26:27]
	s_nop 1
	v_div_fmas_f64 v[8:9], v[8:9], v[10:11], v[28:29]
	v_div_fixup_f64 v[6:7], v[8:9], v[6:7], 1.0
	v_fma_f64 v[8:9], v[12:13], v[2:3], v[4:5]
	v_fma_f64 v[2:3], v[12:13], v[4:5], -v[2:3]
	v_mul_f64 v[10:11], v[8:9], v[6:7]
	v_mul_f64 v[12:13], v[6:7], v[2:3]
                                        ; implicit-def: $vgpr6_vgpr7
                                        ; implicit-def: $vgpr4_vgpr5
.LBB14_67:                              ;   in Loop: Header=BB14_63 Depth=2
	s_andn2_saveexec_b64 s[44:45], s[44:45]
	s_cbranch_execz .LBB14_69
; %bb.68:                               ;   in Loop: Header=BB14_63 Depth=2
	v_div_scale_f64 v[10:11], s[48:49], v[6:7], v[6:7], -v[8:9]
	v_rcp_f64_e32 v[12:13], v[10:11]
	v_div_scale_f64 v[26:27], vcc, -v[8:9], v[6:7], -v[8:9]
	v_fma_f64 v[28:29], -v[10:11], v[12:13], 1.0
	v_fmac_f64_e32 v[12:13], v[12:13], v[28:29]
	v_fma_f64 v[28:29], -v[10:11], v[12:13], 1.0
	v_fmac_f64_e32 v[12:13], v[12:13], v[28:29]
	v_mul_f64 v[28:29], v[26:27], v[12:13]
	v_fma_f64 v[10:11], -v[10:11], v[28:29], v[26:27]
	v_div_fmas_f64 v[10:11], v[10:11], v[12:13], v[28:29]
	v_div_fixup_f64 v[12:13], v[10:11], v[6:7], -v[8:9]
	v_fma_f64 v[6:7], -v[8:9], v[12:13], v[6:7]
	v_div_scale_f64 v[8:9], s[48:49], v[6:7], v[6:7], 1.0
	v_rcp_f64_e32 v[10:11], v[8:9]
	s_nop 0
	v_fma_f64 v[26:27], -v[8:9], v[10:11], 1.0
	v_fmac_f64_e32 v[10:11], v[10:11], v[26:27]
	v_fma_f64 v[26:27], -v[8:9], v[10:11], 1.0
	v_fmac_f64_e32 v[10:11], v[10:11], v[26:27]
	v_div_scale_f64 v[26:27], vcc, 1.0, v[6:7], 1.0
	v_mul_f64 v[28:29], v[26:27], v[10:11]
	v_fma_f64 v[8:9], -v[8:9], v[28:29], v[26:27]
	s_nop 1
	v_div_fmas_f64 v[8:9], v[8:9], v[10:11], v[28:29]
	v_div_fixup_f64 v[6:7], v[8:9], v[6:7], 1.0
	v_fma_f64 v[8:9], v[12:13], v[4:5], v[2:3]
	v_fma_f64 v[2:3], -v[12:13], v[2:3], v[4:5]
	v_mul_f64 v[10:11], v[6:7], v[8:9]
	v_mul_f64 v[12:13], v[2:3], v[6:7]
.LBB14_69:                              ;   in Loop: Header=BB14_63 Depth=2
	s_or_b64 exec, exec, s[44:45]
	ds_write_b128 v1, v[10:13]
.LBB14_70:                              ;   in Loop: Header=BB14_63 Depth=2
	s_or_b64 exec, exec, s[2:3]
	v_cmp_lt_u32_e32 vcc, s7, v0
	v_cmp_ge_i32_e64 s[2:3], s46, v24
	s_and_b64 s[44:45], s[42:43], vcc
	s_and_b64 s[44:45], s[44:45], s[2:3]
	s_waitcnt lgkmcnt(0)
	s_barrier
	s_and_saveexec_b64 s[2:3], s[44:45]
	s_cbranch_execz .LBB14_61
; %bb.71:                               ;   in Loop: Header=BB14_63 Depth=2
	flat_load_dwordx4 v[2:5], v[20:21]
	v_mov_b32_e32 v6, s33
	ds_read_b128 v[6:9], v6
	ds_read_b128 v[10:13], v1
	s_waitcnt vmcnt(0) lgkmcnt(0)
	v_mul_f64 v[26:27], v[4:5], v[8:9]
	v_mul_f64 v[4:5], v[4:5], v[6:7]
	v_fmac_f64_e32 v[26:27], v[2:3], v[6:7]
	v_fma_f64 v[4:5], v[2:3], v[8:9], -v[4:5]
	v_add_f64 v[2:3], v[10:11], -v[26:27]
	v_add_f64 v[4:5], v[12:13], -v[4:5]
	ds_write_b128 v1, v[2:5]
	s_branch .LBB14_61
.LBB14_72:                              ;   in Loop: Header=BB14_58 Depth=1
	s_add_i32 s7, s4, 0x200
	s_cmp_ge_i32 s7, s5
	s_cselect_b64 s[2:3], -1, 0
	s_and_b64 vcc, exec, s[2:3]
	s_waitcnt lgkmcnt(0)
	s_barrier
	s_cbranch_vccnz .LBB14_104
; %bb.73:                               ;   in Loop: Header=BB14_58 Depth=1
	v_mad_i64_i32 v[2:3], s[42:43], v22, -16, v[16:17]
	s_mov_b64 s[42:43], 0
	v_mov_b32_e32 v10, v0
	s_mov_b32 s33, s7
                                        ; implicit-def: $sgpr44_sgpr45
	s_branch .LBB14_76
.LBB14_74:                              ;   in Loop: Header=BB14_76 Depth=2
	v_mad_u64_u32 v[8:9], s[48:49], s8, v11, 0
	v_mov_b32_e32 v12, v9
	v_mad_u64_u32 v[12:13], s[48:49], s9, v11, v[12:13]
	v_mov_b32_e32 v9, v12
	v_lshl_add_u64 v[12:13], v[8:9], 4, s[16:17]
	flat_load_dwordx4 v[18:21], v[12:13]
	s_addk_i32 s33, 0x200
	s_cmp_ge_i32 s33, s5
	s_cselect_b64 s[48:49], -1, 0
	s_andn2_b64 s[44:45], s[44:45], exec
	s_and_b64 s[48:49], s[48:49], exec
	v_lshl_add_u64 v[2:3], v[2:3], 0, s[38:39]
	s_or_b64 s[44:45], s[44:45], s[48:49]
	s_waitcnt vmcnt(0) lgkmcnt(0)
	v_add_f64 v[6:7], v[18:19], -v[6:7]
	v_add_f64 v[8:9], v[20:21], -v[4:5]
	flat_store_dwordx4 v[12:13], v[6:9]
.LBB14_75:                              ;   in Loop: Header=BB14_76 Depth=2
	s_or_b64 exec, exec, s[46:47]
	s_and_b64 s[46:47], exec, s[44:45]
	s_or_b64 s[42:43], s[46:47], s[42:43]
	s_andn2_b64 exec, exec, s[42:43]
	s_cbranch_execz .LBB14_103
.LBB14_76:                              ;   Parent Loop BB14_58 Depth=1
                                        ; =>  This Loop Header: Depth=2
                                        ;       Child Loop BB14_79 Depth 3
	v_add_u32_e32 v11, s33, v0
	v_cmp_gt_i32_e32 vcc, s5, v11
	s_or_b64 s[44:45], s[44:45], exec
	s_and_saveexec_b64 s[46:47], vcc
	s_cbranch_execz .LBB14_75
; %bb.77:                               ;   in Loop: Header=BB14_76 Depth=2
	v_subrev_u32_e32 v12, s6, v11
	v_add_u32_e32 v13, 0x1fd, v10
	v_add_u32_e32 v18, 0x1fe, v10
	;; [unrolled: 1-line block ×4, first 2 shown]
	v_mov_b64_e32 v[4:5], 0
	s_mov_b32 s52, 0
	s_movk_i32 s53, 0x2000
	v_mov_b64_e32 v[8:9], v[2:3]
	v_mov_b64_e32 v[6:7], 0
	s_branch .LBB14_79
.LBB14_78:                              ;   in Loop: Header=BB14_79 Depth=3
	s_or_b64 exec, exec, s[48:49]
	s_add_i32 s52, s52, 4
	s_add_i32 s53, s53, 64
	s_cmpk_eq_i32 s52, 0x200
	v_lshl_add_u64 v[8:9], v[8:9], 0, 64
	s_cbranch_scc1 .LBB14_74
.LBB14_79:                              ;   Parent Loop BB14_58 Depth=1
                                        ;     Parent Loop BB14_76 Depth=2
                                        ; =>    This Inner Loop Header: Depth=3
	v_cmp_ne_u32_e32 vcc, s52, v10
	s_add_i32 s54, s4, s52
	s_or_b64 s[48:49], s[40:41], vcc
	s_and_saveexec_b64 s[50:51], s[48:49]
	s_xor_b64 s[48:49], exec, s[50:51]
	s_cbranch_execz .LBB14_83
; %bb.80:                               ;   in Loop: Header=BB14_79 Depth=3
	s_cmp_lt_i32 s54, s5
	s_cselect_b64 s[50:51], -1, 0
	v_cmp_ge_i32_e32 vcc, s54, v12
	s_and_b64 s[56:57], s[50:51], vcc
	s_and_saveexec_b64 s[50:51], s[56:57]
	s_cbranch_execz .LBB14_82
; %bb.81:                               ;   in Loop: Header=BB14_79 Depth=3
	flat_load_dwordx4 v[24:27], v[8:9]
	v_mov_b32_e32 v20, s53
	ds_read_b128 v[28:31], v20
	s_waitcnt vmcnt(0) lgkmcnt(0)
	v_mul_f64 v[20:21], v[26:27], v[30:31]
	v_mul_f64 v[26:27], v[26:27], v[28:29]
	v_fmac_f64_e32 v[20:21], v[24:25], v[28:29]
	v_fma_f64 v[24:25], v[24:25], v[30:31], -v[26:27]
	v_add_f64 v[6:7], v[6:7], v[20:21]
	v_add_f64 v[4:5], v[4:5], v[24:25]
.LBB14_82:                              ;   in Loop: Header=BB14_79 Depth=3
	s_or_b64 exec, exec, s[50:51]
.LBB14_83:                              ;   in Loop: Header=BB14_79 Depth=3
	s_andn2_saveexec_b64 s[48:49], s[48:49]
	s_cbranch_execz .LBB14_85
; %bb.84:                               ;   in Loop: Header=BB14_79 Depth=3
	v_mov_b32_e32 v20, s53
	ds_read_b128 v[24:27], v20
	s_waitcnt lgkmcnt(0)
	v_add_f64 v[6:7], v[6:7], v[24:25]
	v_add_f64 v[4:5], v[4:5], v[26:27]
.LBB14_85:                              ;   in Loop: Header=BB14_79 Depth=3
	s_or_b64 exec, exec, s[48:49]
	v_cmp_ne_u32_e32 vcc, s52, v19
	s_or_b64 s[48:49], s[40:41], vcc
	s_and_saveexec_b64 s[50:51], s[48:49]
	s_xor_b64 s[48:49], exec, s[50:51]
	s_cbranch_execz .LBB14_89
; %bb.86:                               ;   in Loop: Header=BB14_79 Depth=3
	s_add_i32 s55, s54, 1
	s_cmp_lt_i32 s55, s5
	s_cselect_b64 s[50:51], -1, 0
	v_cmp_ge_i32_e32 vcc, s55, v12
	s_and_b64 s[56:57], s[50:51], vcc
	s_and_saveexec_b64 s[50:51], s[56:57]
	s_cbranch_execz .LBB14_88
; %bb.87:                               ;   in Loop: Header=BB14_79 Depth=3
	flat_load_dwordx4 v[24:27], v[8:9] offset:16
	v_mov_b32_e32 v20, s53
	ds_read_b128 v[28:31], v20 offset:16
	s_waitcnt vmcnt(0) lgkmcnt(0)
	v_mul_f64 v[20:21], v[26:27], v[30:31]
	v_mul_f64 v[26:27], v[26:27], v[28:29]
	v_fmac_f64_e32 v[20:21], v[24:25], v[28:29]
	v_fma_f64 v[24:25], v[24:25], v[30:31], -v[26:27]
	v_add_f64 v[6:7], v[6:7], v[20:21]
	v_add_f64 v[4:5], v[4:5], v[24:25]
.LBB14_88:                              ;   in Loop: Header=BB14_79 Depth=3
	s_or_b64 exec, exec, s[50:51]
.LBB14_89:                              ;   in Loop: Header=BB14_79 Depth=3
	s_andn2_saveexec_b64 s[48:49], s[48:49]
	s_cbranch_execz .LBB14_91
; %bb.90:                               ;   in Loop: Header=BB14_79 Depth=3
	v_mov_b32_e32 v20, s53
	ds_read_b128 v[24:27], v20 offset:16
	s_waitcnt lgkmcnt(0)
	v_add_f64 v[6:7], v[6:7], v[24:25]
	v_add_f64 v[4:5], v[4:5], v[26:27]
.LBB14_91:                              ;   in Loop: Header=BB14_79 Depth=3
	s_or_b64 exec, exec, s[48:49]
	v_cmp_ne_u32_e32 vcc, s52, v18
	s_or_b64 s[48:49], s[40:41], vcc
	s_and_saveexec_b64 s[50:51], s[48:49]
	s_xor_b64 s[48:49], exec, s[50:51]
	s_cbranch_execz .LBB14_95
; %bb.92:                               ;   in Loop: Header=BB14_79 Depth=3
	s_add_i32 s55, s54, 2
	s_cmp_lt_i32 s55, s5
	s_cselect_b64 s[50:51], -1, 0
	v_cmp_ge_i32_e32 vcc, s55, v12
	s_and_b64 s[56:57], s[50:51], vcc
	s_and_saveexec_b64 s[50:51], s[56:57]
	s_cbranch_execz .LBB14_94
; %bb.93:                               ;   in Loop: Header=BB14_79 Depth=3
	flat_load_dwordx4 v[24:27], v[8:9] offset:32
	v_mov_b32_e32 v20, s53
	ds_read_b128 v[28:31], v20 offset:32
	s_waitcnt vmcnt(0) lgkmcnt(0)
	v_mul_f64 v[20:21], v[26:27], v[30:31]
	v_mul_f64 v[26:27], v[26:27], v[28:29]
	v_fmac_f64_e32 v[20:21], v[24:25], v[28:29]
	v_fma_f64 v[24:25], v[24:25], v[30:31], -v[26:27]
	v_add_f64 v[6:7], v[6:7], v[20:21]
	v_add_f64 v[4:5], v[4:5], v[24:25]
.LBB14_94:                              ;   in Loop: Header=BB14_79 Depth=3
	s_or_b64 exec, exec, s[50:51]
.LBB14_95:                              ;   in Loop: Header=BB14_79 Depth=3
	s_andn2_saveexec_b64 s[48:49], s[48:49]
	s_cbranch_execz .LBB14_97
; %bb.96:                               ;   in Loop: Header=BB14_79 Depth=3
	v_mov_b32_e32 v20, s53
	ds_read_b128 v[24:27], v20 offset:32
	s_waitcnt lgkmcnt(0)
	v_add_f64 v[6:7], v[6:7], v[24:25]
	v_add_f64 v[4:5], v[4:5], v[26:27]
.LBB14_97:                              ;   in Loop: Header=BB14_79 Depth=3
	s_or_b64 exec, exec, s[48:49]
	v_cmp_ne_u32_e32 vcc, s52, v13
	s_or_b64 s[48:49], s[40:41], vcc
	s_and_saveexec_b64 s[50:51], s[48:49]
	s_xor_b64 s[48:49], exec, s[50:51]
	s_cbranch_execz .LBB14_101
; %bb.98:                               ;   in Loop: Header=BB14_79 Depth=3
	s_add_i32 s54, s54, 3
	s_cmp_lt_i32 s54, s5
	s_cselect_b64 s[50:51], -1, 0
	v_cmp_ge_i32_e32 vcc, s54, v12
	s_and_b64 s[54:55], s[50:51], vcc
	s_and_saveexec_b64 s[50:51], s[54:55]
	s_cbranch_execz .LBB14_100
; %bb.99:                               ;   in Loop: Header=BB14_79 Depth=3
	flat_load_dwordx4 v[24:27], v[8:9] offset:48
	v_mov_b32_e32 v20, s53
	ds_read_b128 v[28:31], v20 offset:48
	s_waitcnt vmcnt(0) lgkmcnt(0)
	v_mul_f64 v[20:21], v[26:27], v[30:31]
	v_mul_f64 v[26:27], v[26:27], v[28:29]
	v_fmac_f64_e32 v[20:21], v[24:25], v[28:29]
	v_fma_f64 v[24:25], v[24:25], v[30:31], -v[26:27]
	v_add_f64 v[6:7], v[6:7], v[20:21]
	v_add_f64 v[4:5], v[4:5], v[24:25]
.LBB14_100:                             ;   in Loop: Header=BB14_79 Depth=3
	s_or_b64 exec, exec, s[50:51]
.LBB14_101:                             ;   in Loop: Header=BB14_79 Depth=3
	s_andn2_saveexec_b64 s[48:49], s[48:49]
	s_cbranch_execz .LBB14_78
; %bb.102:                              ;   in Loop: Header=BB14_79 Depth=3
	v_mov_b32_e32 v20, s53
	ds_read_b128 v[24:27], v20 offset:48
	s_waitcnt lgkmcnt(0)
	v_add_f64 v[6:7], v[6:7], v[24:25]
	v_add_f64 v[4:5], v[4:5], v[26:27]
	s_branch .LBB14_78
.LBB14_103:                             ;   in Loop: Header=BB14_58 Depth=1
	s_or_b64 exec, exec, s[42:43]
.LBB14_104:                             ;   in Loop: Header=BB14_58 Depth=1
	s_and_saveexec_b64 s[42:43], s[0:1]
	s_cbranch_execz .LBB14_57
; %bb.105:                              ;   in Loop: Header=BB14_58 Depth=1
	v_mad_u64_u32 v[6:7], s[0:1], s8, v23, 0
	ds_read2_b64 v[2:5], v1 offset1:1
	v_mov_b32_e32 v8, v7
	v_mad_u64_u32 v[8:9], s[0:1], s9, v23, v[8:9]
	v_mov_b32_e32 v7, v8
	v_lshl_add_u64 v[6:7], v[6:7], 4, s[16:17]
	s_waitcnt lgkmcnt(0)
	flat_store_dwordx4 v[6:7], v[2:5]
	s_branch .LBB14_57
.LBB14_106:
	s_mov_b64 s[0:1], 0
.LBB14_107:
	s_andn2_b64 vcc, exec, s[0:1]
	s_cbranch_vccnz .LBB14_189
; %bb.108:
	s_mov_b64 s[0:1], -1
	s_and_b64 vcc, exec, s[26:27]
	s_cbranch_vccz .LBB14_149
; %bb.109:
	s_andn2_b64 vcc, exec, s[24:25]
	s_cbranch_vccnz .LBB14_148
; %bb.110:
	s_add_u32 s0, s20, s22
	s_addc_u32 s1, s21, s23
	s_add_u32 s26, s0, 8
	s_addc_u32 s27, s1, 0
	s_lshl_b64 s[28:29], s[12:13], 13
	s_lshl_b64 s[30:31], s[12:13], 4
	s_lshl_b64 s[0:1], s[12:13], 5
	s_add_u32 s34, s20, s30
	s_addc_u32 s35, s21, s31
	s_add_u32 s4, s0, 0xffffffe0
	v_lshlrev_b32_e32 v1, 4, v0
	v_or_b32_e32 v14, 0x200, v0
	s_addc_u32 s7, s1, -1
	s_mov_b32 s33, 0
	s_mov_b64 s[36:37], -1
	s_mov_b64 s[38:39], 0
	s_xor_b64 s[40:41], s[18:19], -1
	v_mov_b32_e32 v17, 0
	s_mov_b64 s[42:43], 0
	s_mov_b64 s[44:45], s[14:15]
	s_branch .LBB14_112
.LBB14_111:                             ;   in Loop: Header=BB14_112 Depth=1
	s_or_b64 exec, exec, s[46:47]
	s_add_u32 s26, s26, s28
	s_addc_u32 s27, s27, s29
	s_add_u32 s44, s44, s28
	s_addc_u32 s45, s45, s29
	s_add_u32 s36, s36, 0xfffffe00
	s_addc_u32 s37, s37, -1
	s_add_u32 s42, s42, s28
	s_addc_u32 s43, s43, s29
	s_add_u32 s38, s38, 0xfffffe00
	v_add_u32_e32 v14, 0x200, v14
	s_addc_u32 s39, s39, -1
	s_and_b64 vcc, exec, s[2:3]
	s_mov_b32 s33, s62
	s_waitcnt lgkmcnt(0)
	s_barrier
	s_cbranch_vccnz .LBB14_148
.LBB14_112:                             ; =>This Loop Header: Depth=1
                                        ;     Child Loop BB14_116 Depth 2
                                        ;     Child Loop BB14_130 Depth 2
                                        ;       Child Loop BB14_133 Depth 3
	v_add_u32_e32 v18, s33, v0
	v_cmp_le_i32_e32 vcc, s5, v18
	v_cmp_gt_i32_e64 s[0:1], s5, v18
	s_and_saveexec_b64 s[2:3], s[0:1]
	s_cbranch_execz .LBB14_114
; %bb.113:                              ;   in Loop: Header=BB14_112 Depth=1
	v_mad_u64_u32 v[2:3], s[46:47], s8, v18, 0
	v_mov_b32_e32 v4, v3
	v_mad_u64_u32 v[4:5], s[46:47], s9, v18, v[4:5]
	v_mov_b32_e32 v3, v4
	v_lshl_add_u64 v[2:3], v[2:3], 4, s[16:17]
	flat_load_dwordx4 v[2:5], v[2:3]
	s_waitcnt vmcnt(0) lgkmcnt(0)
	ds_write2_b64 v1, v[2:3], v[4:5] offset1:1
.LBB14_114:                             ;   in Loop: Header=BB14_112 Depth=1
	s_or_b64 exec, exec, s[2:3]
	v_subrev_u32_e32 v15, s6, v18
	s_mov_b32 s54, 0
	s_xor_b64 s[46:47], vcc, -1
	s_mov_b64 s[48:49], s[44:45]
	s_mov_b64 s[50:51], s[26:27]
	v_mov_b32_e32 v16, v0
	s_mov_b32 s55, 0
	s_waitcnt lgkmcnt(0)
	s_barrier
	s_branch .LBB14_116
.LBB14_115:                             ;   in Loop: Header=BB14_116 Depth=2
                                        ; implicit-def: $sgpr55
                                        ; implicit-def: $sgpr54
                                        ; implicit-def: $sgpr50_sgpr51
                                        ; implicit-def: $sgpr48_sgpr49
	s_cbranch_execnz .LBB14_126
.LBB14_116:                             ;   Parent Loop BB14_112 Depth=1
                                        ; =>  This Inner Loop Header: Depth=2
	s_add_i32 s56, s33, s55
	s_cmp_ge_i32 s56, s5
	s_cbranch_scc1 .LBB14_115
; %bb.117:                              ;   in Loop: Header=BB14_116 Depth=2
	v_cmp_eq_u32_e32 vcc, s55, v0
	s_and_b64 s[52:53], s[40:41], vcc
	s_and_saveexec_b64 s[2:3], s[52:53]
	s_cbranch_execz .LBB14_123
; %bb.118:                              ;   in Loop: Header=BB14_116 Depth=2
	v_mov_b32_e32 v3, s51
	v_add_co_u32_e64 v2, vcc, -8, s50
	ds_read_b128 v[6:9], v1
	s_nop 0
	v_addc_co_u32_e32 v3, vcc, -1, v3, vcc
	flat_load_dwordx4 v[2:5], v[2:3]
                                        ; implicit-def: $vgpr10_vgpr11
	s_waitcnt vmcnt(0) lgkmcnt(0)
	v_cmp_ngt_f64_e64 s[52:53], |v[2:3]|, |v[4:5]|
	s_and_saveexec_b64 s[58:59], s[52:53]
	s_xor_b64 s[52:53], exec, s[58:59]
	s_cbranch_execz .LBB14_120
; %bb.119:                              ;   in Loop: Header=BB14_116 Depth=2
	v_div_scale_f64 v[10:11], s[58:59], v[4:5], v[4:5], v[2:3]
	v_rcp_f64_e32 v[12:13], v[10:11]
	v_div_scale_f64 v[20:21], vcc, v[2:3], v[4:5], v[2:3]
	v_fma_f64 v[22:23], -v[10:11], v[12:13], 1.0
	v_fmac_f64_e32 v[12:13], v[12:13], v[22:23]
	v_fma_f64 v[22:23], -v[10:11], v[12:13], 1.0
	v_fmac_f64_e32 v[12:13], v[12:13], v[22:23]
	v_mul_f64 v[22:23], v[20:21], v[12:13]
	v_fma_f64 v[10:11], -v[10:11], v[22:23], v[20:21]
	v_div_fmas_f64 v[10:11], v[10:11], v[12:13], v[22:23]
	v_div_fixup_f64 v[12:13], v[10:11], v[4:5], v[2:3]
	v_fmac_f64_e32 v[4:5], v[2:3], v[12:13]
	v_div_scale_f64 v[2:3], s[58:59], v[4:5], v[4:5], 1.0
	v_rcp_f64_e32 v[10:11], v[2:3]
	s_nop 0
	v_fma_f64 v[20:21], -v[2:3], v[10:11], 1.0
	v_fmac_f64_e32 v[10:11], v[10:11], v[20:21]
	v_fma_f64 v[20:21], -v[2:3], v[10:11], 1.0
	v_fmac_f64_e32 v[10:11], v[10:11], v[20:21]
	v_div_scale_f64 v[20:21], vcc, 1.0, v[4:5], 1.0
	v_mul_f64 v[22:23], v[20:21], v[10:11]
	v_fma_f64 v[2:3], -v[2:3], v[22:23], v[20:21]
	s_nop 1
	v_div_fmas_f64 v[2:3], v[2:3], v[10:11], v[22:23]
	v_div_fixup_f64 v[2:3], v[2:3], v[4:5], 1.0
	v_fma_f64 v[4:5], v[12:13], v[6:7], v[8:9]
	v_mul_f64 v[10:11], v[4:5], v[2:3]
	v_fma_f64 v[4:5], v[12:13], v[8:9], -v[6:7]
	v_mul_f64 v[12:13], v[2:3], v[4:5]
                                        ; implicit-def: $vgpr2_vgpr3
                                        ; implicit-def: $vgpr8_vgpr9
.LBB14_120:                             ;   in Loop: Header=BB14_116 Depth=2
	s_andn2_saveexec_b64 s[52:53], s[52:53]
	s_cbranch_execz .LBB14_122
; %bb.121:                              ;   in Loop: Header=BB14_116 Depth=2
	v_div_scale_f64 v[10:11], s[58:59], v[2:3], v[2:3], v[4:5]
	v_rcp_f64_e32 v[12:13], v[10:11]
	v_div_scale_f64 v[20:21], vcc, v[4:5], v[2:3], v[4:5]
	v_fma_f64 v[22:23], -v[10:11], v[12:13], 1.0
	v_fmac_f64_e32 v[12:13], v[12:13], v[22:23]
	v_fma_f64 v[22:23], -v[10:11], v[12:13], 1.0
	v_fmac_f64_e32 v[12:13], v[12:13], v[22:23]
	v_mul_f64 v[22:23], v[20:21], v[12:13]
	v_fma_f64 v[10:11], -v[10:11], v[22:23], v[20:21]
	v_div_fmas_f64 v[10:11], v[10:11], v[12:13], v[22:23]
	v_div_fixup_f64 v[12:13], v[10:11], v[2:3], v[4:5]
	v_fmac_f64_e32 v[2:3], v[4:5], v[12:13]
	v_div_scale_f64 v[4:5], s[58:59], v[2:3], v[2:3], 1.0
	v_rcp_f64_e32 v[10:11], v[4:5]
	s_nop 0
	v_fma_f64 v[20:21], -v[4:5], v[10:11], 1.0
	v_fmac_f64_e32 v[10:11], v[10:11], v[20:21]
	v_fma_f64 v[20:21], -v[4:5], v[10:11], 1.0
	v_fmac_f64_e32 v[10:11], v[10:11], v[20:21]
	v_div_scale_f64 v[20:21], vcc, 1.0, v[2:3], 1.0
	v_mul_f64 v[22:23], v[20:21], v[10:11]
	v_fma_f64 v[4:5], -v[4:5], v[22:23], v[20:21]
	s_nop 1
	v_div_fmas_f64 v[4:5], v[4:5], v[10:11], v[22:23]
	v_div_fixup_f64 v[2:3], v[4:5], v[2:3], 1.0
	v_fma_f64 v[4:5], v[12:13], v[8:9], v[6:7]
	v_mul_f64 v[10:11], v[2:3], v[4:5]
	v_fma_f64 v[4:5], -v[12:13], v[6:7], v[8:9]
	v_mul_f64 v[12:13], v[4:5], v[2:3]
.LBB14_122:                             ;   in Loop: Header=BB14_116 Depth=2
	s_or_b64 exec, exec, s[52:53]
	ds_write_b128 v1, v[10:13]
.LBB14_123:                             ;   in Loop: Header=BB14_116 Depth=2
	s_or_b64 exec, exec, s[2:3]
	v_cmp_lt_u32_e32 vcc, s55, v0
	v_cmp_ge_i32_e64 s[2:3], s56, v15
	s_and_b64 s[52:53], s[46:47], vcc
	s_and_b64 s[52:53], s[52:53], s[2:3]
	s_waitcnt lgkmcnt(0)
	s_barrier
	s_and_saveexec_b64 s[2:3], s[52:53]
	s_cbranch_execz .LBB14_125
; %bb.124:                              ;   in Loop: Header=BB14_116 Depth=2
	v_lshl_add_u64 v[2:3], v[16:17], 4, s[48:49]
	flat_load_dwordx4 v[2:5], v[2:3]
	v_mov_b32_e32 v6, s54
	ds_read_b128 v[6:9], v6
	ds_read_b128 v[10:13], v1
	s_waitcnt vmcnt(0) lgkmcnt(0)
	v_mul_f64 v[20:21], v[4:5], v[8:9]
	v_mul_f64 v[8:9], v[2:3], v[8:9]
	v_fma_f64 v[2:3], v[2:3], v[6:7], -v[20:21]
	v_fmac_f64_e32 v[8:9], v[4:5], v[6:7]
	v_add_f64 v[2:3], v[10:11], -v[2:3]
	v_add_f64 v[4:5], v[12:13], -v[8:9]
	ds_write_b128 v1, v[2:5]
.LBB14_125:                             ;   in Loop: Header=BB14_116 Depth=2
	s_or_b64 exec, exec, s[2:3]
	s_add_i32 s55, s55, 1
	s_add_i32 s54, s54, 16
	s_add_u32 s50, s50, s30
	s_addc_u32 s51, s51, s31
	s_add_u32 s48, s48, s30
	s_addc_u32 s49, s49, s31
	s_cmpk_eq_i32 s55, 0x200
	v_add_u32_e32 v16, -1, v16
	s_cselect_b64 s[2:3], -1, 0
	s_and_b64 vcc, exec, s[2:3]
	s_cbranch_vccz .LBB14_116
.LBB14_126:                             ;   in Loop: Header=BB14_112 Depth=1
	s_add_i32 s62, s33, 0x200
	s_cmp_ge_i32 s62, s5
	s_cselect_b64 s[2:3], -1, 0
	s_and_b64 vcc, exec, s[2:3]
	s_waitcnt lgkmcnt(0)
	s_barrier
	s_cbranch_vccnz .LBB14_146
; %bb.127:                              ;   in Loop: Header=BB14_112 Depth=1
	v_ashrrev_i32_e32 v15, 31, v14
	v_lshl_add_u64 v[2:3], s[36:37], 0, v[14:15]
	v_lshl_add_u64 v[4:5], s[38:39], 0, v[14:15]
	v_lshlrev_b64 v[2:3], 4, v[2:3]
	v_lshlrev_b64 v[4:5], 4, v[4:5]
	s_mov_b64 s[46:47], 0
	v_mov_b32_e32 v10, v0
	s_mov_b64 s[48:49], s[42:43]
	s_mov_b32 s63, s62
                                        ; implicit-def: $sgpr50_sgpr51
	s_branch .LBB14_130
.LBB14_128:                             ;   in Loop: Header=BB14_130 Depth=2
	v_mad_u64_u32 v[12:13], s[54:55], s8, v11, 0
	v_mov_b32_e32 v16, v13
	v_mad_u64_u32 v[20:21], s[54:55], s9, v11, v[16:17]
	v_mov_b32_e32 v13, v20
	v_lshl_add_u64 v[12:13], v[12:13], 4, s[16:17]
	flat_load_dwordx4 v[20:23], v[12:13]
	s_addk_i32 s63, 0x200
	s_add_u32 s48, s48, 0x2000
	s_addc_u32 s49, s49, 0
	s_cmp_ge_i32 s63, s5
	s_cselect_b64 s[54:55], -1, 0
	s_andn2_b64 s[50:51], s[50:51], exec
	s_and_b64 s[54:55], s[54:55], exec
	s_or_b64 s[50:51], s[50:51], s[54:55]
	s_waitcnt vmcnt(0) lgkmcnt(0)
	v_add_f64 v[20:21], v[20:21], -v[8:9]
	v_add_f64 v[22:23], v[22:23], -v[6:7]
	flat_store_dwordx4 v[12:13], v[20:23]
.LBB14_129:                             ;   in Loop: Header=BB14_130 Depth=2
	s_or_b64 exec, exec, s[52:53]
	s_and_b64 s[52:53], exec, s[50:51]
	s_or_b64 s[46:47], s[52:53], s[46:47]
	s_andn2_b64 exec, exec, s[46:47]
	s_cbranch_execz .LBB14_145
.LBB14_130:                             ;   Parent Loop BB14_112 Depth=1
                                        ; =>  This Loop Header: Depth=2
                                        ;       Child Loop BB14_133 Depth 3
	v_add_u32_e32 v11, s63, v0
	v_cmp_gt_i32_e32 vcc, s5, v11
	s_or_b64 s[50:51], s[50:51], exec
	s_and_saveexec_b64 s[52:53], vcc
	s_cbranch_execz .LBB14_129
; %bb.131:                              ;   in Loop: Header=BB14_130 Depth=2
	v_subrev_u32_e32 v12, s6, v11
	v_add_u32_e32 v13, 0x1ff, v10
	v_add_u32_e32 v10, 0x200, v10
	v_mov_b64_e32 v[6:7], 0
	s_mov_b32 s64, 0
	s_mov_b64 s[54:55], s[20:21]
	s_mov_b64 s[56:57], s[34:35]
	s_mov_b32 s65, 0
	v_mov_b64_e32 v[8:9], 0
	s_branch .LBB14_133
.LBB14_132:                             ;   in Loop: Header=BB14_133 Depth=3
	s_or_b64 exec, exec, s[58:59]
	s_add_i32 s65, s65, 2
	s_add_u32 s56, s56, s4
	s_addc_u32 s57, s57, s7
	s_add_i32 s64, s64, 32
	s_add_u32 s54, s54, s4
	s_addc_u32 s55, s55, s7
	s_cmpk_eq_i32 s65, 0x200
	s_cbranch_scc1 .LBB14_128
.LBB14_133:                             ;   Parent Loop BB14_112 Depth=1
                                        ;     Parent Loop BB14_130 Depth=2
                                        ; =>    This Inner Loop Header: Depth=3
	v_cmp_ne_u32_e32 vcc, s65, v10
	s_add_i32 s66, s33, s65
	s_or_b64 s[58:59], s[40:41], vcc
	s_and_saveexec_b64 s[60:61], s[58:59]
	s_xor_b64 s[58:59], exec, s[60:61]
	s_cbranch_execz .LBB14_137
; %bb.134:                              ;   in Loop: Header=BB14_133 Depth=3
	s_cmp_lt_i32 s66, s5
	s_cselect_b64 s[60:61], -1, 0
	v_cmp_ge_i32_e32 vcc, s66, v12
	s_and_b64 s[68:69], s[60:61], vcc
	s_and_saveexec_b64 s[60:61], s[68:69]
	s_cbranch_execz .LBB14_136
; %bb.135:                              ;   in Loop: Header=BB14_133 Depth=3
	s_add_u32 s68, s54, s22
	s_addc_u32 s69, s55, s23
	v_lshl_add_u64 v[20:21], s[68:69], 0, v[4:5]
	v_lshl_add_u64 v[20:21], v[20:21], 0, s[48:49]
	flat_load_dwordx4 v[20:23], v[20:21]
	v_mov_b32_e32 v15, s64
	ds_read_b128 v[24:27], v15
	s_waitcnt vmcnt(0) lgkmcnt(0)
	v_mul_f64 v[28:29], v[22:23], v[26:27]
	v_mul_f64 v[26:27], v[20:21], v[26:27]
	v_fma_f64 v[20:21], v[20:21], v[24:25], -v[28:29]
	v_fmac_f64_e32 v[26:27], v[22:23], v[24:25]
	v_add_f64 v[8:9], v[8:9], v[20:21]
	v_add_f64 v[6:7], v[6:7], v[26:27]
.LBB14_136:                             ;   in Loop: Header=BB14_133 Depth=3
	s_or_b64 exec, exec, s[60:61]
.LBB14_137:                             ;   in Loop: Header=BB14_133 Depth=3
	s_andn2_saveexec_b64 s[58:59], s[58:59]
	s_cbranch_execz .LBB14_139
; %bb.138:                              ;   in Loop: Header=BB14_133 Depth=3
	v_mov_b32_e32 v15, s64
	ds_read_b128 v[20:23], v15
	s_waitcnt lgkmcnt(0)
	v_add_f64 v[8:9], v[8:9], v[20:21]
	v_add_f64 v[6:7], v[6:7], v[22:23]
.LBB14_139:                             ;   in Loop: Header=BB14_133 Depth=3
	s_or_b64 exec, exec, s[58:59]
	v_cmp_ne_u32_e32 vcc, s65, v13
	s_or_b64 s[58:59], s[40:41], vcc
	s_and_saveexec_b64 s[60:61], s[58:59]
	s_xor_b64 s[58:59], exec, s[60:61]
	s_cbranch_execz .LBB14_143
; %bb.140:                              ;   in Loop: Header=BB14_133 Depth=3
	s_add_i32 s66, s66, 1
	s_cmp_lt_i32 s66, s5
	s_cselect_b64 s[60:61], -1, 0
	v_cmp_ge_i32_e32 vcc, s66, v12
	s_and_b64 s[66:67], s[60:61], vcc
	s_and_saveexec_b64 s[60:61], s[66:67]
	s_cbranch_execz .LBB14_142
; %bb.141:                              ;   in Loop: Header=BB14_133 Depth=3
	s_add_u32 s66, s56, s22
	s_addc_u32 s67, s57, s23
	v_lshl_add_u64 v[20:21], s[66:67], 0, v[2:3]
	v_lshl_add_u64 v[20:21], v[20:21], 0, s[48:49]
	flat_load_dwordx4 v[20:23], v[20:21]
	v_mov_b32_e32 v15, s64
	ds_read_b128 v[24:27], v15 offset:16
	s_waitcnt vmcnt(0) lgkmcnt(0)
	v_mul_f64 v[28:29], v[22:23], v[26:27]
	v_mul_f64 v[26:27], v[20:21], v[26:27]
	v_fma_f64 v[20:21], v[20:21], v[24:25], -v[28:29]
	v_fmac_f64_e32 v[26:27], v[22:23], v[24:25]
	v_add_f64 v[8:9], v[8:9], v[20:21]
	v_add_f64 v[6:7], v[6:7], v[26:27]
.LBB14_142:                             ;   in Loop: Header=BB14_133 Depth=3
	s_or_b64 exec, exec, s[60:61]
.LBB14_143:                             ;   in Loop: Header=BB14_133 Depth=3
	s_andn2_saveexec_b64 s[58:59], s[58:59]
	s_cbranch_execz .LBB14_132
; %bb.144:                              ;   in Loop: Header=BB14_133 Depth=3
	v_mov_b32_e32 v15, s64
	ds_read_b128 v[20:23], v15 offset:16
	s_waitcnt lgkmcnt(0)
	v_add_f64 v[8:9], v[8:9], v[20:21]
	v_add_f64 v[6:7], v[6:7], v[22:23]
	s_branch .LBB14_132
.LBB14_145:                             ;   in Loop: Header=BB14_112 Depth=1
	s_or_b64 exec, exec, s[46:47]
.LBB14_146:                             ;   in Loop: Header=BB14_112 Depth=1
	s_and_saveexec_b64 s[46:47], s[0:1]
	s_cbranch_execz .LBB14_111
; %bb.147:                              ;   in Loop: Header=BB14_112 Depth=1
	v_mad_u64_u32 v[6:7], s[0:1], s8, v18, 0
	ds_read2_b64 v[2:5], v1 offset1:1
	v_mov_b32_e32 v8, v7
	v_mad_u64_u32 v[8:9], s[0:1], s9, v18, v[8:9]
	v_mov_b32_e32 v7, v8
	v_lshl_add_u64 v[6:7], v[6:7], 4, s[16:17]
	s_waitcnt lgkmcnt(0)
	flat_store_dwordx4 v[6:7], v[2:5]
	s_branch .LBB14_111
.LBB14_148:
	s_mov_b64 s[0:1], 0
.LBB14_149:
	s_andn2_b64 vcc, exec, s[0:1]
	s_cbranch_vccnz .LBB14_189
; %bb.150:
	s_andn2_b64 vcc, exec, s[24:25]
	s_cbranch_vccnz .LBB14_189
; %bb.151:
	s_ashr_i32 s7, s6, 31
	s_add_i32 s30, s5, 0xfffffe00
	s_add_i32 s24, s5, -1
	s_lshl_b64 s[0:1], s[6:7], 4
	s_add_u32 s2, s22, s0
	s_addc_u32 s3, s23, s1
	s_ashr_i32 s25, s24, 31
	s_lshl_b64 s[0:1], s[24:25], 4
	s_sub_u32 s0, s2, s0
	s_subb_u32 s1, s3, s1
	s_add_u32 s22, s20, s0
	s_addc_u32 s23, s21, s1
	s_lshl_b64 s[26:27], s[12:13], 4
	s_add_u32 s4, s26, 16
	s_addc_u32 s25, s27, 0
	s_sub_i32 s0, s6, s5
	s_add_i32 s33, s0, 0x1ff
	s_add_u32 s0, s10, s6
	s_addc_u32 s1, s11, s7
	s_ashr_i32 s3, s5, 31
	s_mov_b32 s2, s5
	s_lshl_b64 s[0:1], s[0:1], 4
	s_lshl_b64 s[2:3], s[2:3], 4
	s_sub_u32 s0, s0, s2
	s_subb_u32 s1, s1, s3
	s_add_u32 s2, s20, s0
	s_addc_u32 s3, s21, s1
	s_add_u32 s7, s2, 0x2008
	s_addc_u32 s46, s3, 0
	s_lshl_b64 s[0:1], s[12:13], 5
	s_add_u32 s47, s0, 0xffffffe0
	s_addc_u32 s48, s1, -1
	v_mov_b32_e32 v1, 0x4000
	v_add_u32_e32 v2, s5, v0
	s_add_u32 s49, s2, 0x2000
	v_lshl_or_b32 v1, v0, 4, v1
	v_add_u32_e32 v14, 0xfffffe00, v2
	v_add_u32_e32 v20, 0xfffffc00, v2
	s_addc_u32 s50, s3, 0
	v_mov_b32_e32 v17, 0
	s_xor_b64 s[10:11], s[18:19], -1
	s_branch .LBB14_153
.LBB14_152:                             ;   in Loop: Header=BB14_153 Depth=1
	s_or_b64 exec, exec, s[18:19]
	s_addk_i32 s24, 0xfe00
	s_add_u32 s22, s22, 0x2000
	s_addc_u32 s23, s23, 0
	s_addk_i32 s5, 0xfe00
	s_addk_i32 s33, 0x200
	s_add_u32 s7, s7, 0x2000
	s_addc_u32 s46, s46, 0
	s_add_u32 s49, s49, 0x2000
	v_add_u32_e32 v14, 0xfffffe00, v14
	v_add_u32_e32 v20, 0xfffffe00, v20
	s_addc_u32 s50, s50, 0
	s_and_b64 vcc, exec, s[2:3]
	s_mov_b32 s30, s51
	s_waitcnt lgkmcnt(0)
	s_barrier
	s_cbranch_vccnz .LBB14_189
.LBB14_153:                             ; =>This Loop Header: Depth=1
                                        ;     Child Loop BB14_157 Depth 2
                                        ;     Child Loop BB14_171 Depth 2
                                        ;       Child Loop BB14_174 Depth 3
	v_add_u32_e32 v21, s30, v0
	v_cmp_gt_i32_e32 vcc, 0, v21
	v_cmp_lt_i32_e64 s[0:1], -1, v21
	s_and_saveexec_b64 s[2:3], s[0:1]
	s_cbranch_execz .LBB14_155
; %bb.154:                              ;   in Loop: Header=BB14_153 Depth=1
	v_mad_u64_u32 v[2:3], s[18:19], s8, v21, 0
	v_mov_b32_e32 v4, v3
	v_mad_u64_u32 v[4:5], s[18:19], s9, v21, v[4:5]
	v_mov_b32_e32 v3, v4
	v_lshl_add_u64 v[2:3], v[2:3], 4, s[16:17]
	flat_load_dwordx4 v[2:5], v[2:3]
	s_waitcnt vmcnt(0) lgkmcnt(0)
	ds_write2_b64 v1, v[2:3], v[4:5] offset1:1
.LBB14_155:                             ;   in Loop: Header=BB14_153 Depth=1
	s_or_b64 exec, exec, s[2:3]
	v_mov_b32_e32 v15, v17
	v_lshl_add_u64 v[18:19], v[14:15], 4, s[22:23]
	v_add_u32_e32 v15, s6, v21
	s_movk_i32 s31, 0x1ff
	s_movk_i32 s34, 0x5ff0
	s_xor_b64 s[18:19], vcc, -1
	s_mov_b32 s35, s24
	s_mov_b64 s[20:21], s[22:23]
	s_waitcnt lgkmcnt(0)
	s_barrier
	s_branch .LBB14_157
.LBB14_156:                             ;   in Loop: Header=BB14_157 Depth=2
                                        ; implicit-def: $sgpr31
                                        ; implicit-def: $sgpr34
                                        ; implicit-def: $sgpr20_sgpr21
                                        ; implicit-def: $sgpr35
                                        ; implicit-def: $vgpr18_vgpr19
	s_cbranch_execnz .LBB14_167
.LBB14_157:                             ;   Parent Loop BB14_153 Depth=1
                                        ; =>  This Inner Loop Header: Depth=2
	s_add_i32 s36, s24, s31
	s_addk_i32 s36, 0xfe01
	s_cmp_lt_i32 s36, 0
	s_cbranch_scc1 .LBB14_156
; %bb.158:                              ;   in Loop: Header=BB14_157 Depth=2
	v_cmp_eq_u32_e32 vcc, s31, v0
	s_and_b64 s[28:29], s[10:11], vcc
	s_and_saveexec_b64 s[2:3], s[28:29]
	s_cbranch_execz .LBB14_164
; %bb.159:                              ;   in Loop: Header=BB14_157 Depth=2
	s_mul_i32 s28, s25, s35
	s_mul_hi_u32 s29, s4, s35
	s_add_i32 s29, s29, s28
	s_mul_i32 s28, s4, s35
	s_add_u32 s28, s20, s28
	s_addc_u32 s29, s21, s29
	v_mov_b64_e32 v[2:3], s[28:29]
	flat_load_dwordx4 v[2:5], v[2:3]
	ds_read_b128 v[6:9], v1
                                        ; implicit-def: $vgpr10_vgpr11
	s_waitcnt vmcnt(0) lgkmcnt(0)
	v_cmp_ngt_f64_e64 s[28:29], |v[2:3]|, |v[4:5]|
	s_and_saveexec_b64 s[38:39], s[28:29]
	s_xor_b64 s[28:29], exec, s[38:39]
	s_cbranch_execz .LBB14_161
; %bb.160:                              ;   in Loop: Header=BB14_157 Depth=2
	v_div_scale_f64 v[10:11], s[38:39], v[4:5], v[4:5], v[2:3]
	v_rcp_f64_e32 v[12:13], v[10:11]
	v_div_scale_f64 v[22:23], vcc, v[2:3], v[4:5], v[2:3]
	v_fma_f64 v[24:25], -v[10:11], v[12:13], 1.0
	v_fmac_f64_e32 v[12:13], v[12:13], v[24:25]
	v_fma_f64 v[24:25], -v[10:11], v[12:13], 1.0
	v_fmac_f64_e32 v[12:13], v[12:13], v[24:25]
	v_mul_f64 v[24:25], v[22:23], v[12:13]
	v_fma_f64 v[10:11], -v[10:11], v[24:25], v[22:23]
	v_div_fmas_f64 v[10:11], v[10:11], v[12:13], v[24:25]
	v_div_fixup_f64 v[12:13], v[10:11], v[4:5], v[2:3]
	v_fmac_f64_e32 v[4:5], v[2:3], v[12:13]
	v_div_scale_f64 v[2:3], s[38:39], v[4:5], v[4:5], 1.0
	v_rcp_f64_e32 v[10:11], v[2:3]
	s_nop 0
	v_fma_f64 v[22:23], -v[2:3], v[10:11], 1.0
	v_fmac_f64_e32 v[10:11], v[10:11], v[22:23]
	v_fma_f64 v[22:23], -v[2:3], v[10:11], 1.0
	v_fmac_f64_e32 v[10:11], v[10:11], v[22:23]
	v_div_scale_f64 v[22:23], vcc, 1.0, v[4:5], 1.0
	v_mul_f64 v[24:25], v[22:23], v[10:11]
	v_fma_f64 v[2:3], -v[2:3], v[24:25], v[22:23]
	s_nop 1
	v_div_fmas_f64 v[2:3], v[2:3], v[10:11], v[24:25]
	v_div_fixup_f64 v[2:3], v[2:3], v[4:5], 1.0
	v_fma_f64 v[4:5], v[12:13], v[6:7], v[8:9]
	v_mul_f64 v[10:11], v[4:5], v[2:3]
	v_fma_f64 v[4:5], v[12:13], v[8:9], -v[6:7]
	v_mul_f64 v[12:13], v[2:3], v[4:5]
                                        ; implicit-def: $vgpr2_vgpr3
                                        ; implicit-def: $vgpr8_vgpr9
.LBB14_161:                             ;   in Loop: Header=BB14_157 Depth=2
	s_andn2_saveexec_b64 s[28:29], s[28:29]
	s_cbranch_execz .LBB14_163
; %bb.162:                              ;   in Loop: Header=BB14_157 Depth=2
	v_div_scale_f64 v[10:11], s[38:39], v[2:3], v[2:3], v[4:5]
	v_rcp_f64_e32 v[12:13], v[10:11]
	v_div_scale_f64 v[22:23], vcc, v[4:5], v[2:3], v[4:5]
	v_fma_f64 v[24:25], -v[10:11], v[12:13], 1.0
	v_fmac_f64_e32 v[12:13], v[12:13], v[24:25]
	v_fma_f64 v[24:25], -v[10:11], v[12:13], 1.0
	v_fmac_f64_e32 v[12:13], v[12:13], v[24:25]
	v_mul_f64 v[24:25], v[22:23], v[12:13]
	v_fma_f64 v[10:11], -v[10:11], v[24:25], v[22:23]
	v_div_fmas_f64 v[10:11], v[10:11], v[12:13], v[24:25]
	v_div_fixup_f64 v[12:13], v[10:11], v[2:3], v[4:5]
	v_fmac_f64_e32 v[2:3], v[4:5], v[12:13]
	v_div_scale_f64 v[4:5], s[38:39], v[2:3], v[2:3], 1.0
	v_rcp_f64_e32 v[10:11], v[4:5]
	s_nop 0
	v_fma_f64 v[22:23], -v[4:5], v[10:11], 1.0
	v_fmac_f64_e32 v[10:11], v[10:11], v[22:23]
	v_fma_f64 v[22:23], -v[4:5], v[10:11], 1.0
	v_fmac_f64_e32 v[10:11], v[10:11], v[22:23]
	v_div_scale_f64 v[22:23], vcc, 1.0, v[2:3], 1.0
	v_mul_f64 v[24:25], v[22:23], v[10:11]
	v_fma_f64 v[4:5], -v[4:5], v[24:25], v[22:23]
	s_nop 1
	v_div_fmas_f64 v[4:5], v[4:5], v[10:11], v[24:25]
	v_div_fixup_f64 v[2:3], v[4:5], v[2:3], 1.0
	v_fma_f64 v[4:5], v[12:13], v[8:9], v[6:7]
	v_mul_f64 v[10:11], v[2:3], v[4:5]
	v_fma_f64 v[4:5], -v[12:13], v[6:7], v[8:9]
	v_mul_f64 v[12:13], v[4:5], v[2:3]
.LBB14_163:                             ;   in Loop: Header=BB14_157 Depth=2
	s_or_b64 exec, exec, s[28:29]
	ds_write_b128 v1, v[10:13]
.LBB14_164:                             ;   in Loop: Header=BB14_157 Depth=2
	s_or_b64 exec, exec, s[2:3]
	v_cmp_gt_u32_e32 vcc, s31, v0
	v_cmp_le_i32_e64 s[2:3], s36, v15
	s_and_b64 s[28:29], s[18:19], vcc
	s_and_b64 s[28:29], s[28:29], s[2:3]
	s_waitcnt lgkmcnt(0)
	s_barrier
	s_and_saveexec_b64 s[2:3], s[28:29]
	s_cbranch_execz .LBB14_166
; %bb.165:                              ;   in Loop: Header=BB14_157 Depth=2
	v_mov_b32_e32 v2, s35
	v_mad_u64_u32 v[2:3], s[28:29], s26, v2, v[18:19]
	s_mul_i32 s28, s27, s35
	s_nop 0
	v_add_u32_e32 v3, s28, v3
	flat_load_dwordx4 v[2:5], v[2:3]
	v_mov_b32_e32 v6, s34
	ds_read_b128 v[6:9], v6
	ds_read_b128 v[10:13], v1
	s_waitcnt vmcnt(0) lgkmcnt(0)
	v_mul_f64 v[22:23], v[4:5], v[8:9]
	v_mul_f64 v[8:9], v[2:3], v[8:9]
	v_fma_f64 v[2:3], v[2:3], v[6:7], -v[22:23]
	v_fmac_f64_e32 v[8:9], v[4:5], v[6:7]
	v_add_f64 v[2:3], v[10:11], -v[2:3]
	v_add_f64 v[4:5], v[12:13], -v[8:9]
	ds_write_b128 v1, v[2:5]
.LBB14_166:                             ;   in Loop: Header=BB14_157 Depth=2
	s_or_b64 exec, exec, s[2:3]
	s_add_i32 s31, s31, -1
	s_add_i32 s34, s34, -16
	s_add_u32 s20, s20, 16
	s_addc_u32 s21, s21, 0
	s_add_i32 s35, s35, -1
	s_cmp_eq_u32 s31, -1
	v_lshl_add_u64 v[18:19], v[18:19], 0, 16
	s_cselect_b64 s[2:3], -1, 0
	s_and_b64 vcc, exec, s[2:3]
	s_cbranch_vccz .LBB14_157
.LBB14_167:                             ;   in Loop: Header=BB14_153 Depth=1
	s_add_i32 s51, s30, 0xfffffe00
	s_cmp_lt_i32 s30, 1
	s_cselect_b64 s[2:3], -1, 0
	s_and_b64 vcc, exec, s[2:3]
	s_waitcnt lgkmcnt(0)
	s_barrier
	s_cbranch_vccnz .LBB14_187
; %bb.168:                              ;   in Loop: Header=BB14_153 Depth=1
	s_mul_i32 s18, s27, s30
	s_mul_hi_u32 s19, s26, s30
	s_add_i32 s21, s19, s18
	s_mul_i32 s20, s26, s30
	s_add_u32 s18, s7, s20
	s_addc_u32 s19, s46, s21
	s_add_u32 s20, s49, s20
	s_addc_u32 s21, s50, s21
	s_mov_b64 s[28:29], 0
	v_mov_b32_e32 v2, v20
	v_mov_b32_e32 v12, v0
	s_mov_b32 s52, s51
                                        ; implicit-def: $sgpr30_sgpr31
	s_branch .LBB14_171
.LBB14_169:                             ;   in Loop: Header=BB14_171 Depth=2
	v_mad_u64_u32 v[8:9], s[36:37], s8, v16, 0
	v_mov_b32_e32 v10, v9
	v_mad_u64_u32 v[10:11], s[36:37], s9, v16, v[10:11]
	v_mov_b32_e32 v9, v10
	v_lshl_add_u64 v[18:19], v[8:9], 4, s[16:17]
	flat_load_dwordx4 v[8:11], v[18:19]
	s_add_i32 s38, s52, 0xfffffe00
	s_cmp_lt_i32 s52, 1
	s_cselect_b64 s[36:37], -1, 0
	s_andn2_b64 s[30:31], s[30:31], exec
	s_and_b64 s[36:37], s[36:37], exec
	v_add_u32_e32 v2, 0xfffffe00, v2
	s_or_b64 s[30:31], s[30:31], s[36:37]
	s_mov_b32 s52, s38
	s_waitcnt vmcnt(0) lgkmcnt(0)
	v_add_f64 v[6:7], v[8:9], -v[6:7]
	v_add_f64 v[8:9], v[10:11], -v[4:5]
	flat_store_dwordx4 v[18:19], v[6:9]
.LBB14_170:                             ;   in Loop: Header=BB14_171 Depth=2
	s_or_b64 exec, exec, s[34:35]
	s_and_b64 s[34:35], exec, s[30:31]
	s_or_b64 s[28:29], s[34:35], s[28:29]
	s_andn2_b64 exec, exec, s[28:29]
	s_cbranch_execz .LBB14_186
.LBB14_171:                             ;   Parent Loop BB14_153 Depth=1
                                        ; =>  This Loop Header: Depth=2
                                        ;       Child Loop BB14_174 Depth 3
	v_add_u32_e32 v16, s52, v0
	v_cmp_lt_i32_e32 vcc, -1, v16
	s_or_b64 s[30:31], s[30:31], exec
	s_and_saveexec_b64 s[34:35], vcc
	s_cbranch_execz .LBB14_170
; %bb.172:                              ;   in Loop: Header=BB14_171 Depth=2
	v_mov_b32_e32 v3, v17
	v_lshlrev_b64 v[8:9], 4, v[2:3]
	v_lshl_add_u64 v[10:11], v[16:17], 4, s[14:15]
	v_add_u32_e32 v3, s6, v16
	v_add_u32_e32 v13, 0xfffffdff, v12
	v_add_u32_e32 v12, 0xfffffe00, v12
	v_mov_b64_e32 v[4:5], 0
	s_mov_b32 s53, 0
	s_movk_i32 s54, 0x4000
	s_mov_b64 s[36:37], s[20:21]
	s_mov_b64 s[38:39], s[18:19]
	s_mov_b32 s40, s33
	v_mov_b64_e32 v[6:7], 0
	s_branch .LBB14_174
.LBB14_173:                             ;   in Loop: Header=BB14_174 Depth=3
	s_or_b64 exec, exec, s[42:43]
	s_add_i32 s53, s53, 2
	s_add_i32 s54, s54, 32
	s_add_i32 s40, s40, -2
	s_add_u32 s38, s38, s47
	s_addc_u32 s39, s39, s48
	s_add_u32 s36, s36, s47
	s_addc_u32 s37, s37, s48
	s_cmpk_eq_i32 s53, 0x200
	s_cbranch_scc1 .LBB14_169
.LBB14_174:                             ;   Parent Loop BB14_153 Depth=1
                                        ;     Parent Loop BB14_171 Depth=2
                                        ; =>    This Inner Loop Header: Depth=3
	v_cmp_ne_u32_e32 vcc, s53, v12
	s_add_i32 s41, s5, s53
	s_or_b64 s[42:43], s[10:11], vcc
	s_and_saveexec_b64 s[44:45], s[42:43]
	s_xor_b64 s[42:43], exec, s[44:45]
	s_cbranch_execz .LBB14_178
; %bb.175:                              ;   in Loop: Header=BB14_174 Depth=3
	s_add_i32 s44, s41, 0xfffffe00
	v_cmp_le_i32_e32 vcc, s44, v3
	s_and_saveexec_b64 s[44:45], vcc
	s_cbranch_execz .LBB14_177
; %bb.176:                              ;   in Loop: Header=BB14_174 Depth=3
	v_lshl_add_u64 v[18:19], s[36:37], 0, v[8:9]
	v_lshl_add_u64 v[22:23], s[38:39], 0, v[8:9]
	flat_load_dwordx2 v[26:27], v[22:23]
	s_nop 0
	flat_load_dwordx2 v[18:19], v[18:19]
	v_mov_b32_e32 v15, s54
	ds_read_b128 v[22:25], v15
	s_waitcnt vmcnt(0) lgkmcnt(0)
	v_mul_f64 v[28:29], v[26:27], v[24:25]
	v_mul_f64 v[24:25], v[18:19], v[24:25]
	v_fma_f64 v[18:19], v[18:19], v[22:23], -v[28:29]
	v_fmac_f64_e32 v[24:25], v[26:27], v[22:23]
	v_add_f64 v[6:7], v[6:7], v[18:19]
	v_add_f64 v[4:5], v[4:5], v[24:25]
.LBB14_177:                             ;   in Loop: Header=BB14_174 Depth=3
	s_or_b64 exec, exec, s[44:45]
.LBB14_178:                             ;   in Loop: Header=BB14_174 Depth=3
	s_andn2_saveexec_b64 s[42:43], s[42:43]
	s_cbranch_execz .LBB14_180
; %bb.179:                              ;   in Loop: Header=BB14_174 Depth=3
	v_mov_b32_e32 v15, s54
	ds_read_b128 v[22:25], v15
	s_waitcnt lgkmcnt(0)
	v_add_f64 v[6:7], v[6:7], v[22:23]
	v_add_f64 v[4:5], v[4:5], v[24:25]
.LBB14_180:                             ;   in Loop: Header=BB14_174 Depth=3
	s_or_b64 exec, exec, s[42:43]
	v_cmp_ne_u32_e32 vcc, s53, v13
	s_or_b64 s[42:43], s[10:11], vcc
	s_and_saveexec_b64 s[44:45], s[42:43]
	s_xor_b64 s[42:43], exec, s[44:45]
	s_cbranch_execz .LBB14_184
; %bb.181:                              ;   in Loop: Header=BB14_174 Depth=3
	s_addk_i32 s41, 0xfe01
	v_cmp_le_i32_e32 vcc, s41, v3
	s_and_saveexec_b64 s[44:45], vcc
	s_cbranch_execz .LBB14_183
; %bb.182:                              ;   in Loop: Header=BB14_174 Depth=3
	s_mul_i32 s55, s13, s41
	s_mul_hi_u32 s56, s12, s41
	s_add_i32 s57, s56, s55
	s_mul_i32 s56, s12, s41
	s_ashr_i32 s41, s40, 31
	v_lshl_add_u64 v[18:19], s[56:57], 4, v[10:11]
	v_lshl_add_u64 v[18:19], s[40:41], 4, v[18:19]
	flat_load_dwordx4 v[22:25], v[18:19]
	v_mov_b32_e32 v15, s54
	ds_read_b128 v[26:29], v15 offset:16
	s_waitcnt vmcnt(0) lgkmcnt(0)
	v_mul_f64 v[18:19], v[24:25], v[28:29]
	v_mul_f64 v[28:29], v[22:23], v[28:29]
	v_fma_f64 v[18:19], v[22:23], v[26:27], -v[18:19]
	v_fmac_f64_e32 v[28:29], v[24:25], v[26:27]
	v_add_f64 v[6:7], v[6:7], v[18:19]
	v_add_f64 v[4:5], v[4:5], v[28:29]
.LBB14_183:                             ;   in Loop: Header=BB14_174 Depth=3
	s_or_b64 exec, exec, s[44:45]
.LBB14_184:                             ;   in Loop: Header=BB14_174 Depth=3
	s_andn2_saveexec_b64 s[42:43], s[42:43]
	s_cbranch_execz .LBB14_173
; %bb.185:                              ;   in Loop: Header=BB14_174 Depth=3
	v_mov_b32_e32 v15, s54
	ds_read_b128 v[22:25], v15 offset:16
	s_waitcnt lgkmcnt(0)
	v_add_f64 v[6:7], v[6:7], v[22:23]
	v_add_f64 v[4:5], v[4:5], v[24:25]
	s_branch .LBB14_173
.LBB14_186:                             ;   in Loop: Header=BB14_153 Depth=1
	s_or_b64 exec, exec, s[28:29]
.LBB14_187:                             ;   in Loop: Header=BB14_153 Depth=1
	s_and_saveexec_b64 s[18:19], s[0:1]
	s_cbranch_execz .LBB14_152
; %bb.188:                              ;   in Loop: Header=BB14_153 Depth=1
	v_mad_u64_u32 v[6:7], s[0:1], s8, v21, 0
	ds_read2_b64 v[2:5], v1 offset1:1
	v_mov_b32_e32 v8, v7
	v_mad_u64_u32 v[8:9], s[0:1], s9, v21, v[8:9]
	v_mov_b32_e32 v7, v8
	v_lshl_add_u64 v[6:7], v[6:7], 4, s[16:17]
	s_waitcnt lgkmcnt(0)
	flat_store_dwordx4 v[6:7], v[2:5]
	s_branch .LBB14_152
.LBB14_189:
	s_endpgm
	.section	.rodata,"a",@progbits
	.p2align	6, 0x0
	.amdhsa_kernel _ZL19rocblas_tbsv_kernelILb1ELi512EPKPK19rocblas_complex_numIdEPKPS1_Ev18rocblas_operation_bbiiT1_lllT2_lll
		.amdhsa_group_segment_fixed_size 32768
		.amdhsa_private_segment_fixed_size 0
		.amdhsa_kernarg_size 80
		.amdhsa_user_sgpr_count 2
		.amdhsa_user_sgpr_dispatch_ptr 0
		.amdhsa_user_sgpr_queue_ptr 0
		.amdhsa_user_sgpr_kernarg_segment_ptr 1
		.amdhsa_user_sgpr_dispatch_id 0
		.amdhsa_user_sgpr_kernarg_preload_length 0
		.amdhsa_user_sgpr_kernarg_preload_offset 0
		.amdhsa_user_sgpr_private_segment_size 0
		.amdhsa_uses_dynamic_stack 0
		.amdhsa_enable_private_segment 0
		.amdhsa_system_sgpr_workgroup_id_x 1
		.amdhsa_system_sgpr_workgroup_id_y 0
		.amdhsa_system_sgpr_workgroup_id_z 0
		.amdhsa_system_sgpr_workgroup_info 0
		.amdhsa_system_vgpr_workitem_id 0
		.amdhsa_next_free_vgpr 32
		.amdhsa_next_free_sgpr 70
		.amdhsa_accum_offset 32
		.amdhsa_reserve_vcc 1
		.amdhsa_float_round_mode_32 0
		.amdhsa_float_round_mode_16_64 0
		.amdhsa_float_denorm_mode_32 3
		.amdhsa_float_denorm_mode_16_64 3
		.amdhsa_dx10_clamp 1
		.amdhsa_ieee_mode 1
		.amdhsa_fp16_overflow 0
		.amdhsa_tg_split 0
		.amdhsa_exception_fp_ieee_invalid_op 0
		.amdhsa_exception_fp_denorm_src 0
		.amdhsa_exception_fp_ieee_div_zero 0
		.amdhsa_exception_fp_ieee_overflow 0
		.amdhsa_exception_fp_ieee_underflow 0
		.amdhsa_exception_fp_ieee_inexact 0
		.amdhsa_exception_int_div_zero 0
	.end_amdhsa_kernel
	.section	.text._ZL19rocblas_tbsv_kernelILb1ELi512EPKPK19rocblas_complex_numIdEPKPS1_Ev18rocblas_operation_bbiiT1_lllT2_lll,"axG",@progbits,_ZL19rocblas_tbsv_kernelILb1ELi512EPKPK19rocblas_complex_numIdEPKPS1_Ev18rocblas_operation_bbiiT1_lllT2_lll,comdat
.Lfunc_end14:
	.size	_ZL19rocblas_tbsv_kernelILb1ELi512EPKPK19rocblas_complex_numIdEPKPS1_Ev18rocblas_operation_bbiiT1_lllT2_lll, .Lfunc_end14-_ZL19rocblas_tbsv_kernelILb1ELi512EPKPK19rocblas_complex_numIdEPKPS1_Ev18rocblas_operation_bbiiT1_lllT2_lll
                                        ; -- End function
	.set _ZL19rocblas_tbsv_kernelILb1ELi512EPKPK19rocblas_complex_numIdEPKPS1_Ev18rocblas_operation_bbiiT1_lllT2_lll.num_vgpr, 32
	.set _ZL19rocblas_tbsv_kernelILb1ELi512EPKPK19rocblas_complex_numIdEPKPS1_Ev18rocblas_operation_bbiiT1_lllT2_lll.num_agpr, 0
	.set _ZL19rocblas_tbsv_kernelILb1ELi512EPKPK19rocblas_complex_numIdEPKPS1_Ev18rocblas_operation_bbiiT1_lllT2_lll.numbered_sgpr, 70
	.set _ZL19rocblas_tbsv_kernelILb1ELi512EPKPK19rocblas_complex_numIdEPKPS1_Ev18rocblas_operation_bbiiT1_lllT2_lll.num_named_barrier, 0
	.set _ZL19rocblas_tbsv_kernelILb1ELi512EPKPK19rocblas_complex_numIdEPKPS1_Ev18rocblas_operation_bbiiT1_lllT2_lll.private_seg_size, 0
	.set _ZL19rocblas_tbsv_kernelILb1ELi512EPKPK19rocblas_complex_numIdEPKPS1_Ev18rocblas_operation_bbiiT1_lllT2_lll.uses_vcc, 1
	.set _ZL19rocblas_tbsv_kernelILb1ELi512EPKPK19rocblas_complex_numIdEPKPS1_Ev18rocblas_operation_bbiiT1_lllT2_lll.uses_flat_scratch, 0
	.set _ZL19rocblas_tbsv_kernelILb1ELi512EPKPK19rocblas_complex_numIdEPKPS1_Ev18rocblas_operation_bbiiT1_lllT2_lll.has_dyn_sized_stack, 0
	.set _ZL19rocblas_tbsv_kernelILb1ELi512EPKPK19rocblas_complex_numIdEPKPS1_Ev18rocblas_operation_bbiiT1_lllT2_lll.has_recursion, 0
	.set _ZL19rocblas_tbsv_kernelILb1ELi512EPKPK19rocblas_complex_numIdEPKPS1_Ev18rocblas_operation_bbiiT1_lllT2_lll.has_indirect_call, 0
	.section	.AMDGPU.csdata,"",@progbits
; Kernel info:
; codeLenInByte = 7960
; TotalNumSgprs: 76
; NumVgprs: 32
; NumAgprs: 0
; TotalNumVgprs: 32
; ScratchSize: 0
; MemoryBound: 0
; FloatMode: 240
; IeeeMode: 1
; LDSByteSize: 32768 bytes/workgroup (compile time only)
; SGPRBlocks: 9
; VGPRBlocks: 3
; NumSGPRsForWavesPerEU: 76
; NumVGPRsForWavesPerEU: 32
; AccumOffset: 32
; Occupancy: 8
; WaveLimiterHint : 1
; COMPUTE_PGM_RSRC2:SCRATCH_EN: 0
; COMPUTE_PGM_RSRC2:USER_SGPR: 2
; COMPUTE_PGM_RSRC2:TRAP_HANDLER: 0
; COMPUTE_PGM_RSRC2:TGID_X_EN: 1
; COMPUTE_PGM_RSRC2:TGID_Y_EN: 0
; COMPUTE_PGM_RSRC2:TGID_Z_EN: 0
; COMPUTE_PGM_RSRC2:TIDIG_COMP_CNT: 0
; COMPUTE_PGM_RSRC3_GFX90A:ACCUM_OFFSET: 7
; COMPUTE_PGM_RSRC3_GFX90A:TG_SPLIT: 0
	.section	.text._ZL19rocblas_tbsv_kernelILb0ELi512EPKPK19rocblas_complex_numIdEPKPS1_Ev18rocblas_operation_bbiiT1_lllT2_lll,"axG",@progbits,_ZL19rocblas_tbsv_kernelILb0ELi512EPKPK19rocblas_complex_numIdEPKPS1_Ev18rocblas_operation_bbiiT1_lllT2_lll,comdat
	.globl	_ZL19rocblas_tbsv_kernelILb0ELi512EPKPK19rocblas_complex_numIdEPKPS1_Ev18rocblas_operation_bbiiT1_lllT2_lll ; -- Begin function _ZL19rocblas_tbsv_kernelILb0ELi512EPKPK19rocblas_complex_numIdEPKPS1_Ev18rocblas_operation_bbiiT1_lllT2_lll
	.p2align	8
	.type	_ZL19rocblas_tbsv_kernelILb0ELi512EPKPK19rocblas_complex_numIdEPKPS1_Ev18rocblas_operation_bbiiT1_lllT2_lll,@function
_ZL19rocblas_tbsv_kernelILb0ELi512EPKPK19rocblas_complex_numIdEPKPS1_Ev18rocblas_operation_bbiiT1_lllT2_lll: ; @_ZL19rocblas_tbsv_kernelILb0ELi512EPKPK19rocblas_complex_numIdEPKPS1_Ev18rocblas_operation_bbiiT1_lllT2_lll
; %bb.0:
	s_load_dwordx2 s[34:35], s[0:1], 0x0
	s_load_dwordx4 s[4:7], s[0:1], 0x4
	s_load_dwordx4 s[8:11], s[0:1], 0x10
	s_load_dwordx2 s[12:13], s[0:1], 0x20
	s_mov_b32 s3, 0
	s_waitcnt lgkmcnt(0)
	s_bitcmp1_b32 s35, 0
	s_cselect_b64 s[14:15], -1, 0
	s_xor_b64 s[26:27], s[14:15], -1
	s_bitcmp1_b32 s4, 8
	s_cselect_b64 s[18:19], -1, 0
	s_lshl_b64 s[2:3], s[2:3], 3
	s_add_u32 s14, s8, s2
	s_addc_u32 s15, s9, s3
	s_load_dwordx2 s[20:21], s[14:15], 0x0
	s_load_dwordx4 s[28:31], s[0:1], 0x30
	s_load_dwordx2 s[8:9], s[0:1], 0x40
	s_lshl_b64 s[22:23], s[10:11], 4
	s_waitcnt lgkmcnt(0)
	s_add_u32 s14, s20, s22
	s_addc_u32 s15, s21, s23
	s_add_u32 s0, s28, s2
	s_addc_u32 s1, s29, s3
	s_load_dwordx2 s[0:1], s[0:1], 0x0
	s_lshl_b64 s[2:3], s[30:31], 4
	s_waitcnt lgkmcnt(0)
	s_add_u32 s16, s0, s2
	s_addc_u32 s17, s1, s3
	s_cmp_gt_i32 s5, 0
	s_cselect_b64 s[24:25], -1, 0
	s_cmpk_lg_i32 s34, 0x6f
	s_mov_b64 s[0:1], -1
	s_cbranch_scc0 .LBB15_107
; %bb.1:
	s_and_b64 vcc, exec, s[26:27]
	s_cbranch_vccz .LBB15_54
; %bb.2:
	s_andn2_b64 vcc, exec, s[24:25]
	s_cbranch_vccnz .LBB15_53
; %bb.3:
	s_ashr_i32 s1, s5, 31
	s_mov_b32 s0, s5
	s_add_i32 s42, s5, 0xfffffe00
	s_add_i32 s4, s5, -1
	s_lshl_b64 s[0:1], s[0:1], 4
	s_add_u32 s0, s22, s0
	s_addc_u32 s1, s23, s1
	s_add_u32 s0, s20, s0
	s_addc_u32 s1, s21, s1
	v_mov_b32_e32 v1, 0x6000
	s_add_u32 s28, s0, 0xffffe000
	v_add_u32_e32 v2, s5, v0
	v_lshl_or_b32 v1, v0, 4, v1
	v_sub_u32_e32 v18, 0, v0
	s_addc_u32 s29, s1, -1
	v_add_u32_e32 v19, 0xfffffc00, v2
	s_lshl_b64 s[30:31], s[12:13], 4
	s_xor_b64 s[34:35], s[18:19], -1
	v_mov_b32_e32 v15, 0
	s_mov_b64 s[36:37], 0x2000
	s_mov_b32 s7, s5
	s_branch .LBB15_5
.LBB15_4:                               ;   in Loop: Header=BB15_5 Depth=1
	s_or_b64 exec, exec, s[38:39]
	s_addk_i32 s4, 0xfe00
	s_addk_i32 s7, 0xfe00
	s_add_u32 s28, s28, 0xffffe000
	s_addc_u32 s29, s29, -1
	v_add_u32_e32 v19, 0xfffffe00, v19
	s_andn2_b64 vcc, exec, s[2:3]
	s_mov_b32 s42, s33
	s_waitcnt lgkmcnt(0)
	s_barrier
	s_cbranch_vccz .LBB15_53
.LBB15_5:                               ; =>This Loop Header: Depth=1
                                        ;     Child Loop BB15_10 Depth 2
                                        ;     Child Loop BB15_23 Depth 2
                                        ;       Child Loop BB15_26 Depth 3
	v_add_u32_e32 v20, s42, v0
	v_cmp_gt_i32_e32 vcc, 0, v20
	v_cmp_lt_i32_e64 s[0:1], -1, v20
	s_and_saveexec_b64 s[2:3], s[0:1]
	s_cbranch_execz .LBB15_7
; %bb.6:                                ;   in Loop: Header=BB15_5 Depth=1
	v_mad_u64_u32 v[2:3], s[38:39], s8, v20, 0
	v_mov_b32_e32 v4, v3
	v_mad_u64_u32 v[4:5], s[38:39], s9, v20, v[4:5]
	v_mov_b32_e32 v3, v4
	v_lshl_add_u64 v[2:3], v[2:3], 4, s[16:17]
	flat_load_dwordx4 v[2:5], v[2:3]
	s_waitcnt vmcnt(0) lgkmcnt(0)
	ds_write2_b64 v1, v[2:3], v[4:5] offset1:1
.LBB15_7:                               ;   in Loop: Header=BB15_5 Depth=1
	s_or_b64 exec, exec, s[2:3]
	v_ashrrev_i32_e32 v2, 31, v20
	v_mul_lo_u32 v4, s13, v20
	v_mul_lo_u32 v5, s12, v2
	v_mad_u64_u32 v[2:3], s[2:3], s12, v20, 0
	v_add3_u32 v3, v3, v5, v4
	v_add_u32_e32 v21, s6, v20
	v_lshl_add_u64 v[16:17], v[2:3], 4, s[14:15]
	s_movk_i32 s33, 0x1ff
	s_movk_i32 s43, 0x7ff0
	s_xor_b64 s[38:39], vcc, -1
	s_waitcnt lgkmcnt(0)
	s_barrier
	s_branch .LBB15_10
.LBB15_8:                               ;   in Loop: Header=BB15_10 Depth=2
	s_or_b64 exec, exec, s[2:3]
	s_add_i32 s33, s33, -1
	s_add_i32 s43, s43, -16
	s_cmp_eq_u32 s33, -1
	s_cselect_b64 s[2:3], -1, 0
.LBB15_9:                               ;   in Loop: Header=BB15_10 Depth=2
	s_and_b64 vcc, exec, s[2:3]
	s_cbranch_vccnz .LBB15_19
.LBB15_10:                              ;   Parent Loop BB15_5 Depth=1
                                        ; =>  This Inner Loop Header: Depth=2
	s_add_i32 s44, s4, s33
	s_addk_i32 s44, 0xfe01
	s_cmp_lt_i32 s44, 0
	s_mov_b64 s[2:3], -1
	s_cbranch_scc1 .LBB15_9
; %bb.11:                               ;   in Loop: Header=BB15_10 Depth=2
	v_add_u32_e32 v14, s33, v18
	v_cmp_eq_u32_e32 vcc, 0, v14
	s_and_b64 s[40:41], s[34:35], vcc
	s_and_saveexec_b64 s[2:3], s[40:41]
	s_cbranch_execz .LBB15_17
; %bb.12:                               ;   in Loop: Header=BB15_10 Depth=2
	s_mul_i32 s40, s13, s44
	s_mul_hi_u32 s41, s12, s44
	s_add_i32 s41, s41, s40
	s_mul_i32 s40, s12, s44
	s_lshl_b64 s[40:41], s[40:41], 4
	s_add_u32 s40, s14, s40
	s_addc_u32 s41, s15, s41
	v_mov_b64_e32 v[2:3], s[40:41]
	flat_load_dwordx4 v[2:5], v[2:3]
	ds_read_b128 v[6:9], v1
                                        ; implicit-def: $vgpr10_vgpr11
	s_waitcnt vmcnt(0) lgkmcnt(0)
	v_cmp_ngt_f64_e64 s[40:41], |v[2:3]|, |v[4:5]|
	s_and_saveexec_b64 s[46:47], s[40:41]
	s_xor_b64 s[40:41], exec, s[46:47]
	s_cbranch_execz .LBB15_14
; %bb.13:                               ;   in Loop: Header=BB15_10 Depth=2
	v_div_scale_f64 v[10:11], s[46:47], v[4:5], v[4:5], v[2:3]
	v_rcp_f64_e32 v[12:13], v[10:11]
	v_div_scale_f64 v[22:23], vcc, v[2:3], v[4:5], v[2:3]
	v_fma_f64 v[24:25], -v[10:11], v[12:13], 1.0
	v_fmac_f64_e32 v[12:13], v[12:13], v[24:25]
	v_fma_f64 v[24:25], -v[10:11], v[12:13], 1.0
	v_fmac_f64_e32 v[12:13], v[12:13], v[24:25]
	v_mul_f64 v[24:25], v[22:23], v[12:13]
	v_fma_f64 v[10:11], -v[10:11], v[24:25], v[22:23]
	v_div_fmas_f64 v[10:11], v[10:11], v[12:13], v[24:25]
	v_div_fixup_f64 v[12:13], v[10:11], v[4:5], v[2:3]
	v_fmac_f64_e32 v[4:5], v[2:3], v[12:13]
	v_div_scale_f64 v[2:3], s[46:47], v[4:5], v[4:5], 1.0
	v_rcp_f64_e32 v[10:11], v[2:3]
	s_nop 0
	v_fma_f64 v[22:23], -v[2:3], v[10:11], 1.0
	v_fmac_f64_e32 v[10:11], v[10:11], v[22:23]
	v_fma_f64 v[22:23], -v[2:3], v[10:11], 1.0
	v_fmac_f64_e32 v[10:11], v[10:11], v[22:23]
	v_div_scale_f64 v[22:23], vcc, 1.0, v[4:5], 1.0
	v_mul_f64 v[24:25], v[22:23], v[10:11]
	v_fma_f64 v[2:3], -v[2:3], v[24:25], v[22:23]
	s_nop 1
	v_div_fmas_f64 v[2:3], v[2:3], v[10:11], v[24:25]
	v_div_fixup_f64 v[2:3], v[2:3], v[4:5], 1.0
	v_fma_f64 v[4:5], v[12:13], v[6:7], v[8:9]
	v_mul_f64 v[10:11], v[4:5], v[2:3]
	v_fma_f64 v[4:5], v[12:13], v[8:9], -v[6:7]
	v_mul_f64 v[12:13], v[2:3], v[4:5]
                                        ; implicit-def: $vgpr2_vgpr3
                                        ; implicit-def: $vgpr8_vgpr9
.LBB15_14:                              ;   in Loop: Header=BB15_10 Depth=2
	s_andn2_saveexec_b64 s[40:41], s[40:41]
	s_cbranch_execz .LBB15_16
; %bb.15:                               ;   in Loop: Header=BB15_10 Depth=2
	v_div_scale_f64 v[10:11], s[46:47], v[2:3], v[2:3], v[4:5]
	v_rcp_f64_e32 v[12:13], v[10:11]
	v_div_scale_f64 v[22:23], vcc, v[4:5], v[2:3], v[4:5]
	v_fma_f64 v[24:25], -v[10:11], v[12:13], 1.0
	v_fmac_f64_e32 v[12:13], v[12:13], v[24:25]
	v_fma_f64 v[24:25], -v[10:11], v[12:13], 1.0
	v_fmac_f64_e32 v[12:13], v[12:13], v[24:25]
	v_mul_f64 v[24:25], v[22:23], v[12:13]
	v_fma_f64 v[10:11], -v[10:11], v[24:25], v[22:23]
	v_div_fmas_f64 v[10:11], v[10:11], v[12:13], v[24:25]
	v_div_fixup_f64 v[12:13], v[10:11], v[2:3], v[4:5]
	v_fmac_f64_e32 v[2:3], v[4:5], v[12:13]
	v_div_scale_f64 v[4:5], s[46:47], v[2:3], v[2:3], 1.0
	v_rcp_f64_e32 v[10:11], v[4:5]
	s_nop 0
	v_fma_f64 v[22:23], -v[4:5], v[10:11], 1.0
	v_fmac_f64_e32 v[10:11], v[10:11], v[22:23]
	v_fma_f64 v[22:23], -v[4:5], v[10:11], 1.0
	v_fmac_f64_e32 v[10:11], v[10:11], v[22:23]
	v_div_scale_f64 v[22:23], vcc, 1.0, v[2:3], 1.0
	v_mul_f64 v[24:25], v[22:23], v[10:11]
	v_fma_f64 v[4:5], -v[4:5], v[24:25], v[22:23]
	s_nop 1
	v_div_fmas_f64 v[4:5], v[4:5], v[10:11], v[24:25]
	v_div_fixup_f64 v[2:3], v[4:5], v[2:3], 1.0
	v_fma_f64 v[4:5], v[12:13], v[8:9], v[6:7]
	v_mul_f64 v[10:11], v[2:3], v[4:5]
	v_fma_f64 v[4:5], -v[12:13], v[6:7], v[8:9]
	v_mul_f64 v[12:13], v[4:5], v[2:3]
.LBB15_16:                              ;   in Loop: Header=BB15_10 Depth=2
	s_or_b64 exec, exec, s[40:41]
	ds_write_b128 v1, v[10:13]
.LBB15_17:                              ;   in Loop: Header=BB15_10 Depth=2
	s_or_b64 exec, exec, s[2:3]
	v_cmp_gt_u32_e32 vcc, s33, v0
	v_cmp_le_i32_e64 s[2:3], s44, v21
	s_and_b64 s[40:41], s[38:39], vcc
	s_and_b64 s[40:41], s[40:41], s[2:3]
	s_waitcnt lgkmcnt(0)
	s_barrier
	s_and_saveexec_b64 s[2:3], s[40:41]
	s_cbranch_execz .LBB15_8
; %bb.18:                               ;   in Loop: Header=BB15_10 Depth=2
	v_lshl_add_u64 v[2:3], v[14:15], 4, v[16:17]
	flat_load_dwordx4 v[2:5], v[2:3]
	v_mov_b32_e32 v6, s43
	ds_read_b128 v[6:9], v6
	ds_read_b128 v[10:13], v1
	s_waitcnt vmcnt(0) lgkmcnt(0)
	v_mul_f64 v[22:23], v[4:5], v[8:9]
	v_mul_f64 v[8:9], v[2:3], v[8:9]
	v_fma_f64 v[2:3], v[2:3], v[6:7], -v[22:23]
	v_fmac_f64_e32 v[8:9], v[4:5], v[6:7]
	v_add_f64 v[2:3], v[10:11], -v[2:3]
	v_add_f64 v[4:5], v[12:13], -v[8:9]
	ds_write_b128 v1, v[2:5]
	s_branch .LBB15_8
.LBB15_19:                              ;   in Loop: Header=BB15_5 Depth=1
	s_add_i32 s33, s42, 0xfffffe00
	s_cmp_lt_i32 s42, 1
	s_cselect_b64 s[2:3], -1, 0
	s_and_b64 vcc, exec, s[2:3]
	s_waitcnt lgkmcnt(0)
	s_barrier
	s_cbranch_vccnz .LBB15_51
; %bb.20:                               ;   in Loop: Header=BB15_5 Depth=1
	v_mad_i64_i32 v[2:3], s[38:39], v19, -16, s[28:29]
	s_mov_b64 s[38:39], 0
	v_mov_b32_e32 v10, v19
	v_mov_b32_e32 v11, v0
	s_mov_b32 s48, s33
                                        ; implicit-def: $sgpr40_sgpr41
	s_branch .LBB15_23
.LBB15_21:                              ;   in Loop: Header=BB15_23 Depth=2
	v_mad_u64_u32 v[8:9], s[44:45], s8, v12, 0
	v_mov_b32_e32 v14, v9
	v_mad_u64_u32 v[12:13], s[44:45], s9, v12, v[14:15]
	v_mov_b32_e32 v9, v12
	v_lshl_add_u64 v[12:13], v[8:9], 4, s[16:17]
	flat_load_dwordx4 v[22:25], v[12:13]
	s_add_i32 s46, s48, 0xfffffe00
	s_cmp_lt_i32 s48, 1
	s_cselect_b64 s[44:45], -1, 0
	s_andn2_b64 s[40:41], s[40:41], exec
	s_and_b64 s[44:45], s[44:45], exec
	v_lshl_add_u64 v[2:3], v[2:3], 0, s[36:37]
	v_add_u32_e32 v10, 0xfffffe00, v10
	s_or_b64 s[40:41], s[40:41], s[44:45]
	s_mov_b32 s48, s46
	s_waitcnt vmcnt(0) lgkmcnt(0)
	v_add_f64 v[6:7], v[22:23], -v[6:7]
	v_add_f64 v[8:9], v[24:25], -v[4:5]
	flat_store_dwordx4 v[12:13], v[6:9]
.LBB15_22:                              ;   in Loop: Header=BB15_23 Depth=2
	s_or_b64 exec, exec, s[42:43]
	s_and_b64 s[42:43], exec, s[40:41]
	s_or_b64 s[38:39], s[42:43], s[38:39]
	s_andn2_b64 exec, exec, s[38:39]
	s_cbranch_execz .LBB15_50
.LBB15_23:                              ;   Parent Loop BB15_5 Depth=1
                                        ; =>  This Loop Header: Depth=2
                                        ;       Child Loop BB15_26 Depth 3
	v_add_u32_e32 v12, s48, v0
	v_cmp_lt_i32_e32 vcc, -1, v12
	s_or_b64 s[40:41], s[40:41], exec
	s_and_saveexec_b64 s[42:43], vcc
	s_cbranch_execz .LBB15_22
; %bb.24:                               ;   in Loop: Header=BB15_23 Depth=2
	v_mad_u64_u32 v[8:9], s[44:45], s30, v10, v[2:3]
	v_mov_b32_e32 v4, v9
	v_mad_u64_u32 v[4:5], s[44:45], s31, v10, v[4:5]
	v_mov_b32_e32 v9, v4
	v_add_u32_e32 v13, s6, v12
	v_add_u32_e32 v14, 0xfffffdfd, v11
	;; [unrolled: 1-line block ×5, first 2 shown]
	v_mov_b64_e32 v[4:5], 0
	s_mov_b32 s49, 0
	s_movk_i32 s50, 0x6000
	v_mov_b64_e32 v[6:7], 0
	s_branch .LBB15_26
.LBB15_25:                              ;   in Loop: Header=BB15_26 Depth=3
	s_or_b64 exec, exec, s[44:45]
	s_add_i32 s49, s49, 4
	s_add_i32 s50, s50, 64
	s_cmpk_eq_i32 s49, 0x200
	v_lshl_add_u64 v[8:9], v[8:9], 0, 64
	s_cbranch_scc1 .LBB15_21
.LBB15_26:                              ;   Parent Loop BB15_5 Depth=1
                                        ;     Parent Loop BB15_23 Depth=2
                                        ; =>    This Inner Loop Header: Depth=3
	v_cmp_ne_u32_e32 vcc, s49, v11
	s_add_i32 s51, s7, s49
	s_or_b64 s[44:45], s[34:35], vcc
	s_and_saveexec_b64 s[46:47], s[44:45]
	s_xor_b64 s[44:45], exec, s[46:47]
	s_cbranch_execz .LBB15_30
; %bb.27:                               ;   in Loop: Header=BB15_26 Depth=3
	s_add_i32 s46, s51, 0xfffffe00
	v_cmp_le_i32_e32 vcc, s46, v13
	s_and_saveexec_b64 s[46:47], vcc
	s_cbranch_execz .LBB15_29
; %bb.28:                               ;   in Loop: Header=BB15_26 Depth=3
	flat_load_dwordx4 v[22:25], v[8:9]
	v_mov_b32_e32 v21, s50
	ds_read_b128 v[26:29], v21
	s_waitcnt vmcnt(0) lgkmcnt(0)
	v_mul_f64 v[30:31], v[24:25], v[28:29]
	v_mul_f64 v[28:29], v[22:23], v[28:29]
	v_fma_f64 v[22:23], v[22:23], v[26:27], -v[30:31]
	v_fmac_f64_e32 v[28:29], v[24:25], v[26:27]
	v_add_f64 v[6:7], v[6:7], v[22:23]
	v_add_f64 v[4:5], v[4:5], v[28:29]
.LBB15_29:                              ;   in Loop: Header=BB15_26 Depth=3
	s_or_b64 exec, exec, s[46:47]
.LBB15_30:                              ;   in Loop: Header=BB15_26 Depth=3
	s_andn2_saveexec_b64 s[44:45], s[44:45]
	s_cbranch_execz .LBB15_32
; %bb.31:                               ;   in Loop: Header=BB15_26 Depth=3
	v_mov_b32_e32 v21, s50
	ds_read_b128 v[22:25], v21
	s_waitcnt lgkmcnt(0)
	v_add_f64 v[6:7], v[6:7], v[22:23]
	v_add_f64 v[4:5], v[4:5], v[24:25]
.LBB15_32:                              ;   in Loop: Header=BB15_26 Depth=3
	s_or_b64 exec, exec, s[44:45]
	v_cmp_ne_u32_e32 vcc, s49, v17
	s_or_b64 s[44:45], s[34:35], vcc
	s_and_saveexec_b64 s[46:47], s[44:45]
	s_xor_b64 s[44:45], exec, s[46:47]
	s_cbranch_execz .LBB15_36
; %bb.33:                               ;   in Loop: Header=BB15_26 Depth=3
	s_add_i32 s46, s51, 0xfffffe01
	v_cmp_le_i32_e32 vcc, s46, v13
	s_and_saveexec_b64 s[46:47], vcc
	s_cbranch_execz .LBB15_35
; %bb.34:                               ;   in Loop: Header=BB15_26 Depth=3
	flat_load_dwordx4 v[22:25], v[8:9] offset:16
	v_mov_b32_e32 v21, s50
	ds_read_b128 v[26:29], v21 offset:16
	s_waitcnt vmcnt(0) lgkmcnt(0)
	v_mul_f64 v[30:31], v[24:25], v[28:29]
	v_mul_f64 v[28:29], v[22:23], v[28:29]
	v_fma_f64 v[22:23], v[22:23], v[26:27], -v[30:31]
	v_fmac_f64_e32 v[28:29], v[24:25], v[26:27]
	v_add_f64 v[6:7], v[6:7], v[22:23]
	v_add_f64 v[4:5], v[4:5], v[28:29]
.LBB15_35:                              ;   in Loop: Header=BB15_26 Depth=3
	s_or_b64 exec, exec, s[46:47]
.LBB15_36:                              ;   in Loop: Header=BB15_26 Depth=3
	s_andn2_saveexec_b64 s[44:45], s[44:45]
	s_cbranch_execz .LBB15_38
; %bb.37:                               ;   in Loop: Header=BB15_26 Depth=3
	v_mov_b32_e32 v21, s50
	ds_read_b128 v[22:25], v21 offset:16
	s_waitcnt lgkmcnt(0)
	v_add_f64 v[6:7], v[6:7], v[22:23]
	v_add_f64 v[4:5], v[4:5], v[24:25]
.LBB15_38:                              ;   in Loop: Header=BB15_26 Depth=3
	s_or_b64 exec, exec, s[44:45]
	v_cmp_ne_u32_e32 vcc, s49, v16
	s_or_b64 s[44:45], s[34:35], vcc
	s_and_saveexec_b64 s[46:47], s[44:45]
	s_xor_b64 s[44:45], exec, s[46:47]
	s_cbranch_execz .LBB15_42
; %bb.39:                               ;   in Loop: Header=BB15_26 Depth=3
	s_add_i32 s46, s51, 0xfffffe02
	v_cmp_le_i32_e32 vcc, s46, v13
	s_and_saveexec_b64 s[46:47], vcc
	s_cbranch_execz .LBB15_41
; %bb.40:                               ;   in Loop: Header=BB15_26 Depth=3
	flat_load_dwordx4 v[22:25], v[8:9] offset:32
	v_mov_b32_e32 v21, s50
	ds_read_b128 v[26:29], v21 offset:32
	s_waitcnt vmcnt(0) lgkmcnt(0)
	v_mul_f64 v[30:31], v[24:25], v[28:29]
	v_mul_f64 v[28:29], v[22:23], v[28:29]
	v_fma_f64 v[22:23], v[22:23], v[26:27], -v[30:31]
	v_fmac_f64_e32 v[28:29], v[24:25], v[26:27]
	v_add_f64 v[6:7], v[6:7], v[22:23]
	v_add_f64 v[4:5], v[4:5], v[28:29]
.LBB15_41:                              ;   in Loop: Header=BB15_26 Depth=3
	s_or_b64 exec, exec, s[46:47]
.LBB15_42:                              ;   in Loop: Header=BB15_26 Depth=3
	s_andn2_saveexec_b64 s[44:45], s[44:45]
	s_cbranch_execz .LBB15_44
; %bb.43:                               ;   in Loop: Header=BB15_26 Depth=3
	v_mov_b32_e32 v21, s50
	ds_read_b128 v[22:25], v21 offset:32
	s_waitcnt lgkmcnt(0)
	v_add_f64 v[6:7], v[6:7], v[22:23]
	v_add_f64 v[4:5], v[4:5], v[24:25]
.LBB15_44:                              ;   in Loop: Header=BB15_26 Depth=3
	s_or_b64 exec, exec, s[44:45]
	v_cmp_ne_u32_e32 vcc, s49, v14
	s_or_b64 s[44:45], s[34:35], vcc
	s_and_saveexec_b64 s[46:47], s[44:45]
	s_xor_b64 s[44:45], exec, s[46:47]
	s_cbranch_execz .LBB15_48
; %bb.45:                               ;   in Loop: Header=BB15_26 Depth=3
	s_addk_i32 s51, 0xfe03
	v_cmp_le_i32_e32 vcc, s51, v13
	s_and_saveexec_b64 s[46:47], vcc
	s_cbranch_execz .LBB15_47
; %bb.46:                               ;   in Loop: Header=BB15_26 Depth=3
	flat_load_dwordx4 v[22:25], v[8:9] offset:48
	v_mov_b32_e32 v21, s50
	ds_read_b128 v[26:29], v21 offset:48
	s_waitcnt vmcnt(0) lgkmcnt(0)
	v_mul_f64 v[30:31], v[24:25], v[28:29]
	v_mul_f64 v[28:29], v[22:23], v[28:29]
	v_fma_f64 v[22:23], v[22:23], v[26:27], -v[30:31]
	v_fmac_f64_e32 v[28:29], v[24:25], v[26:27]
	v_add_f64 v[6:7], v[6:7], v[22:23]
	v_add_f64 v[4:5], v[4:5], v[28:29]
.LBB15_47:                              ;   in Loop: Header=BB15_26 Depth=3
	s_or_b64 exec, exec, s[46:47]
.LBB15_48:                              ;   in Loop: Header=BB15_26 Depth=3
	s_andn2_saveexec_b64 s[44:45], s[44:45]
	s_cbranch_execz .LBB15_25
; %bb.49:                               ;   in Loop: Header=BB15_26 Depth=3
	v_mov_b32_e32 v21, s50
	ds_read_b128 v[22:25], v21 offset:48
	s_waitcnt lgkmcnt(0)
	v_add_f64 v[6:7], v[6:7], v[22:23]
	v_add_f64 v[4:5], v[4:5], v[24:25]
	s_branch .LBB15_25
.LBB15_50:                              ;   in Loop: Header=BB15_5 Depth=1
	s_or_b64 exec, exec, s[38:39]
.LBB15_51:                              ;   in Loop: Header=BB15_5 Depth=1
	s_and_saveexec_b64 s[38:39], s[0:1]
	s_cbranch_execz .LBB15_4
; %bb.52:                               ;   in Loop: Header=BB15_5 Depth=1
	v_mad_u64_u32 v[6:7], s[0:1], s8, v20, 0
	ds_read2_b64 v[2:5], v1 offset1:1
	v_mov_b32_e32 v8, v7
	v_mad_u64_u32 v[8:9], s[0:1], s9, v20, v[8:9]
	v_mov_b32_e32 v7, v8
	v_lshl_add_u64 v[6:7], v[6:7], 4, s[16:17]
	s_waitcnt lgkmcnt(0)
	flat_store_dwordx4 v[6:7], v[2:5]
	s_branch .LBB15_4
.LBB15_53:
	s_mov_b64 s[0:1], 0
.LBB15_54:
	s_andn2_b64 vcc, exec, s[0:1]
	s_cbranch_vccnz .LBB15_106
; %bb.55:
	s_andn2_b64 vcc, exec, s[24:25]
	s_cbranch_vccnz .LBB15_106
; %bb.56:
	s_ashr_i32 s7, s6, 31
	s_lshl_b64 s[28:29], s[12:13], 4
	s_add_u32 s4, s28, -16
	s_addc_u32 s33, s29, -1
	s_lshl_b64 s[0:1], s[6:7], 4
	s_add_u32 s2, s20, s0
	s_addc_u32 s3, s21, s1
	s_add_u32 s2, s2, s22
	s_addc_u32 s3, s3, s23
	v_mov_b64_e32 v[2:3], s[2:3]
	v_mad_u64_u32 v[14:15], s[30:31], s4, v0, v[2:3]
	v_mov_b32_e32 v2, v15
	v_mad_u64_u32 v[2:3], s[30:31], s33, v0, v[2:3]
	s_lshl_b64 s[30:31], s[12:13], 13
	s_add_u32 s0, s22, s0
	s_addc_u32 s1, s23, s1
	s_add_u32 s34, s20, s0
	v_or_b32_e32 v22, 0x200, v0
	v_mov_b32_e32 v15, v2
	s_addc_u32 s35, s21, s1
	v_mad_u64_u32 v[2:3], s[0:1], s12, v22, 0
	v_mov_b32_e32 v4, v3
	s_add_u32 s36, s30, 0x2000
	v_mad_u64_u32 v[4:5], s[0:1], s13, v22, v[4:5]
	s_addc_u32 s37, s31, 0
	v_mov_b32_e32 v1, 0x2000
	v_mov_b32_e32 v3, v4
	s_add_u32 s38, s30, 0xffffe000
	v_lshl_or_b32 v1, v0, 4, v1
	v_lshl_add_u64 v[16:17], v[2:3], 4, s[2:3]
	s_addc_u32 s39, s31, -1
	s_mov_b32 s4, 0
	s_xor_b64 s[40:41], s[18:19], -1
	s_branch .LBB15_58
.LBB15_57:                              ;   in Loop: Header=BB15_58 Depth=1
	s_or_b64 exec, exec, s[42:43]
	s_add_u32 s34, s34, s30
	v_lshl_add_u64 v[14:15], v[14:15], 0, s[30:31]
	s_addc_u32 s35, s35, s31
	v_lshl_add_u64 v[16:17], v[16:17], 0, s[36:37]
	v_add_u32_e32 v22, 0x200, v22
	s_and_b64 vcc, exec, s[2:3]
	s_mov_b32 s4, s7
	s_waitcnt lgkmcnt(0)
	s_barrier
	s_cbranch_vccnz .LBB15_106
.LBB15_58:                              ; =>This Loop Header: Depth=1
                                        ;     Child Loop BB15_63 Depth 2
                                        ;     Child Loop BB15_76 Depth 2
                                        ;       Child Loop BB15_79 Depth 3
	v_add_u32_e32 v23, s4, v0
	v_cmp_le_i32_e32 vcc, s5, v23
	v_cmp_gt_i32_e64 s[0:1], s5, v23
	s_and_saveexec_b64 s[2:3], s[0:1]
	s_cbranch_execz .LBB15_60
; %bb.59:                               ;   in Loop: Header=BB15_58 Depth=1
	v_mad_u64_u32 v[2:3], s[42:43], s8, v23, 0
	v_mov_b32_e32 v4, v3
	v_mad_u64_u32 v[4:5], s[42:43], s9, v23, v[4:5]
	v_mov_b32_e32 v3, v4
	v_lshl_add_u64 v[2:3], v[2:3], 4, s[16:17]
	flat_load_dwordx4 v[2:5], v[2:3]
	s_waitcnt vmcnt(0) lgkmcnt(0)
	ds_write2_b64 v1, v[2:3], v[4:5] offset1:1
.LBB15_60:                              ;   in Loop: Header=BB15_58 Depth=1
	s_or_b64 exec, exec, s[2:3]
	v_subrev_u32_e32 v24, s6, v23
	s_mov_b32 s7, 0
	s_movk_i32 s33, 0x2000
	v_mov_b64_e32 v[18:19], s[34:35]
	s_xor_b64 s[42:43], vcc, -1
	v_mov_b64_e32 v[20:21], v[14:15]
	s_waitcnt lgkmcnt(0)
	s_barrier
	s_branch .LBB15_63
.LBB15_61:                              ;   in Loop: Header=BB15_63 Depth=2
	s_or_b64 exec, exec, s[2:3]
	s_add_i32 s7, s7, 1
	s_add_i32 s33, s33, 16
	s_cmpk_eq_i32 s7, 0x200
	v_lshl_add_u64 v[20:21], v[20:21], 0, 16
	v_lshl_add_u64 v[18:19], v[18:19], 0, s[28:29]
	s_cselect_b64 s[2:3], -1, 0
.LBB15_62:                              ;   in Loop: Header=BB15_63 Depth=2
	s_and_b64 vcc, exec, s[2:3]
	s_cbranch_vccnz .LBB15_72
.LBB15_63:                              ;   Parent Loop BB15_58 Depth=1
                                        ; =>  This Inner Loop Header: Depth=2
	s_add_i32 s46, s4, s7
	s_cmp_ge_i32 s46, s5
	s_mov_b64 s[2:3], -1
	s_cbranch_scc1 .LBB15_62
; %bb.64:                               ;   in Loop: Header=BB15_63 Depth=2
	v_cmp_eq_u32_e32 vcc, s7, v0
	s_and_b64 s[44:45], s[40:41], vcc
	s_and_saveexec_b64 s[2:3], s[44:45]
	s_cbranch_execz .LBB15_70
; %bb.65:                               ;   in Loop: Header=BB15_63 Depth=2
	flat_load_dwordx4 v[2:5], v[18:19]
	ds_read_b128 v[6:9], v1
                                        ; implicit-def: $vgpr10_vgpr11
	s_waitcnt vmcnt(0) lgkmcnt(0)
	v_cmp_ngt_f64_e64 s[44:45], |v[2:3]|, |v[4:5]|
	s_and_saveexec_b64 s[48:49], s[44:45]
	s_xor_b64 s[44:45], exec, s[48:49]
	s_cbranch_execz .LBB15_67
; %bb.66:                               ;   in Loop: Header=BB15_63 Depth=2
	v_div_scale_f64 v[10:11], s[48:49], v[4:5], v[4:5], v[2:3]
	v_rcp_f64_e32 v[12:13], v[10:11]
	v_div_scale_f64 v[26:27], vcc, v[2:3], v[4:5], v[2:3]
	v_fma_f64 v[28:29], -v[10:11], v[12:13], 1.0
	v_fmac_f64_e32 v[12:13], v[12:13], v[28:29]
	v_fma_f64 v[28:29], -v[10:11], v[12:13], 1.0
	v_fmac_f64_e32 v[12:13], v[12:13], v[28:29]
	v_mul_f64 v[28:29], v[26:27], v[12:13]
	v_fma_f64 v[10:11], -v[10:11], v[28:29], v[26:27]
	v_div_fmas_f64 v[10:11], v[10:11], v[12:13], v[28:29]
	v_div_fixup_f64 v[12:13], v[10:11], v[4:5], v[2:3]
	v_fmac_f64_e32 v[4:5], v[2:3], v[12:13]
	v_div_scale_f64 v[2:3], s[48:49], v[4:5], v[4:5], 1.0
	v_rcp_f64_e32 v[10:11], v[2:3]
	s_nop 0
	v_fma_f64 v[26:27], -v[2:3], v[10:11], 1.0
	v_fmac_f64_e32 v[10:11], v[10:11], v[26:27]
	v_fma_f64 v[26:27], -v[2:3], v[10:11], 1.0
	v_fmac_f64_e32 v[10:11], v[10:11], v[26:27]
	v_div_scale_f64 v[26:27], vcc, 1.0, v[4:5], 1.0
	v_mul_f64 v[28:29], v[26:27], v[10:11]
	v_fma_f64 v[2:3], -v[2:3], v[28:29], v[26:27]
	s_nop 1
	v_div_fmas_f64 v[2:3], v[2:3], v[10:11], v[28:29]
	v_div_fixup_f64 v[2:3], v[2:3], v[4:5], 1.0
	v_fma_f64 v[4:5], v[12:13], v[6:7], v[8:9]
	v_mul_f64 v[10:11], v[4:5], v[2:3]
	v_fma_f64 v[4:5], v[12:13], v[8:9], -v[6:7]
	v_mul_f64 v[12:13], v[2:3], v[4:5]
                                        ; implicit-def: $vgpr2_vgpr3
                                        ; implicit-def: $vgpr8_vgpr9
.LBB15_67:                              ;   in Loop: Header=BB15_63 Depth=2
	s_andn2_saveexec_b64 s[44:45], s[44:45]
	s_cbranch_execz .LBB15_69
; %bb.68:                               ;   in Loop: Header=BB15_63 Depth=2
	v_div_scale_f64 v[10:11], s[48:49], v[2:3], v[2:3], v[4:5]
	v_rcp_f64_e32 v[12:13], v[10:11]
	v_div_scale_f64 v[26:27], vcc, v[4:5], v[2:3], v[4:5]
	v_fma_f64 v[28:29], -v[10:11], v[12:13], 1.0
	v_fmac_f64_e32 v[12:13], v[12:13], v[28:29]
	v_fma_f64 v[28:29], -v[10:11], v[12:13], 1.0
	v_fmac_f64_e32 v[12:13], v[12:13], v[28:29]
	v_mul_f64 v[28:29], v[26:27], v[12:13]
	v_fma_f64 v[10:11], -v[10:11], v[28:29], v[26:27]
	v_div_fmas_f64 v[10:11], v[10:11], v[12:13], v[28:29]
	v_div_fixup_f64 v[12:13], v[10:11], v[2:3], v[4:5]
	v_fmac_f64_e32 v[2:3], v[4:5], v[12:13]
	v_div_scale_f64 v[4:5], s[48:49], v[2:3], v[2:3], 1.0
	v_rcp_f64_e32 v[10:11], v[4:5]
	s_nop 0
	v_fma_f64 v[26:27], -v[4:5], v[10:11], 1.0
	v_fmac_f64_e32 v[10:11], v[10:11], v[26:27]
	v_fma_f64 v[26:27], -v[4:5], v[10:11], 1.0
	v_fmac_f64_e32 v[10:11], v[10:11], v[26:27]
	v_div_scale_f64 v[26:27], vcc, 1.0, v[2:3], 1.0
	v_mul_f64 v[28:29], v[26:27], v[10:11]
	v_fma_f64 v[4:5], -v[4:5], v[28:29], v[26:27]
	s_nop 1
	v_div_fmas_f64 v[4:5], v[4:5], v[10:11], v[28:29]
	v_div_fixup_f64 v[2:3], v[4:5], v[2:3], 1.0
	v_fma_f64 v[4:5], v[12:13], v[8:9], v[6:7]
	v_mul_f64 v[10:11], v[2:3], v[4:5]
	v_fma_f64 v[4:5], -v[12:13], v[6:7], v[8:9]
	v_mul_f64 v[12:13], v[4:5], v[2:3]
.LBB15_69:                              ;   in Loop: Header=BB15_63 Depth=2
	s_or_b64 exec, exec, s[44:45]
	ds_write_b128 v1, v[10:13]
.LBB15_70:                              ;   in Loop: Header=BB15_63 Depth=2
	s_or_b64 exec, exec, s[2:3]
	v_cmp_lt_u32_e32 vcc, s7, v0
	v_cmp_ge_i32_e64 s[2:3], s46, v24
	s_and_b64 s[44:45], s[42:43], vcc
	s_and_b64 s[44:45], s[44:45], s[2:3]
	s_waitcnt lgkmcnt(0)
	s_barrier
	s_and_saveexec_b64 s[2:3], s[44:45]
	s_cbranch_execz .LBB15_61
; %bb.71:                               ;   in Loop: Header=BB15_63 Depth=2
	flat_load_dwordx4 v[2:5], v[20:21]
	v_mov_b32_e32 v6, s33
	ds_read_b128 v[6:9], v6
	ds_read_b128 v[10:13], v1
	s_waitcnt vmcnt(0) lgkmcnt(0)
	v_mul_f64 v[26:27], v[4:5], v[8:9]
	v_mul_f64 v[8:9], v[2:3], v[8:9]
	v_fma_f64 v[2:3], v[2:3], v[6:7], -v[26:27]
	v_fmac_f64_e32 v[8:9], v[4:5], v[6:7]
	v_add_f64 v[2:3], v[10:11], -v[2:3]
	v_add_f64 v[4:5], v[12:13], -v[8:9]
	ds_write_b128 v1, v[2:5]
	s_branch .LBB15_61
.LBB15_72:                              ;   in Loop: Header=BB15_58 Depth=1
	s_add_i32 s7, s4, 0x200
	s_cmp_ge_i32 s7, s5
	s_cselect_b64 s[2:3], -1, 0
	s_and_b64 vcc, exec, s[2:3]
	s_waitcnt lgkmcnt(0)
	s_barrier
	s_cbranch_vccnz .LBB15_104
; %bb.73:                               ;   in Loop: Header=BB15_58 Depth=1
	v_mad_i64_i32 v[2:3], s[42:43], v22, -16, v[16:17]
	s_mov_b64 s[42:43], 0
	v_mov_b32_e32 v10, v0
	s_mov_b32 s33, s7
                                        ; implicit-def: $sgpr44_sgpr45
	s_branch .LBB15_76
.LBB15_74:                              ;   in Loop: Header=BB15_76 Depth=2
	v_mad_u64_u32 v[8:9], s[48:49], s8, v11, 0
	v_mov_b32_e32 v12, v9
	v_mad_u64_u32 v[12:13], s[48:49], s9, v11, v[12:13]
	v_mov_b32_e32 v9, v12
	v_lshl_add_u64 v[12:13], v[8:9], 4, s[16:17]
	flat_load_dwordx4 v[18:21], v[12:13]
	s_addk_i32 s33, 0x200
	s_cmp_ge_i32 s33, s5
	s_cselect_b64 s[48:49], -1, 0
	s_andn2_b64 s[44:45], s[44:45], exec
	s_and_b64 s[48:49], s[48:49], exec
	v_lshl_add_u64 v[2:3], v[2:3], 0, s[38:39]
	s_or_b64 s[44:45], s[44:45], s[48:49]
	s_waitcnt vmcnt(0) lgkmcnt(0)
	v_add_f64 v[6:7], v[18:19], -v[6:7]
	v_add_f64 v[8:9], v[20:21], -v[4:5]
	flat_store_dwordx4 v[12:13], v[6:9]
.LBB15_75:                              ;   in Loop: Header=BB15_76 Depth=2
	s_or_b64 exec, exec, s[46:47]
	s_and_b64 s[46:47], exec, s[44:45]
	s_or_b64 s[42:43], s[46:47], s[42:43]
	s_andn2_b64 exec, exec, s[42:43]
	s_cbranch_execz .LBB15_103
.LBB15_76:                              ;   Parent Loop BB15_58 Depth=1
                                        ; =>  This Loop Header: Depth=2
                                        ;       Child Loop BB15_79 Depth 3
	v_add_u32_e32 v11, s33, v0
	v_cmp_gt_i32_e32 vcc, s5, v11
	s_or_b64 s[44:45], s[44:45], exec
	s_and_saveexec_b64 s[46:47], vcc
	s_cbranch_execz .LBB15_75
; %bb.77:                               ;   in Loop: Header=BB15_76 Depth=2
	v_subrev_u32_e32 v12, s6, v11
	v_add_u32_e32 v13, 0x1fd, v10
	v_add_u32_e32 v18, 0x1fe, v10
	;; [unrolled: 1-line block ×4, first 2 shown]
	v_mov_b64_e32 v[4:5], 0
	s_mov_b32 s52, 0
	s_movk_i32 s53, 0x2000
	v_mov_b64_e32 v[8:9], v[2:3]
	v_mov_b64_e32 v[6:7], 0
	s_branch .LBB15_79
.LBB15_78:                              ;   in Loop: Header=BB15_79 Depth=3
	s_or_b64 exec, exec, s[48:49]
	s_add_i32 s52, s52, 4
	s_add_i32 s53, s53, 64
	s_cmpk_eq_i32 s52, 0x200
	v_lshl_add_u64 v[8:9], v[8:9], 0, 64
	s_cbranch_scc1 .LBB15_74
.LBB15_79:                              ;   Parent Loop BB15_58 Depth=1
                                        ;     Parent Loop BB15_76 Depth=2
                                        ; =>    This Inner Loop Header: Depth=3
	v_cmp_ne_u32_e32 vcc, s52, v10
	s_add_i32 s54, s4, s52
	s_or_b64 s[48:49], s[40:41], vcc
	s_and_saveexec_b64 s[50:51], s[48:49]
	s_xor_b64 s[48:49], exec, s[50:51]
	s_cbranch_execz .LBB15_83
; %bb.80:                               ;   in Loop: Header=BB15_79 Depth=3
	s_cmp_lt_i32 s54, s5
	s_cselect_b64 s[50:51], -1, 0
	v_cmp_ge_i32_e32 vcc, s54, v12
	s_and_b64 s[56:57], s[50:51], vcc
	s_and_saveexec_b64 s[50:51], s[56:57]
	s_cbranch_execz .LBB15_82
; %bb.81:                               ;   in Loop: Header=BB15_79 Depth=3
	flat_load_dwordx4 v[24:27], v[8:9]
	v_mov_b32_e32 v20, s53
	ds_read_b128 v[28:31], v20
	s_waitcnt vmcnt(0) lgkmcnt(0)
	v_mul_f64 v[20:21], v[26:27], v[30:31]
	v_mul_f64 v[30:31], v[24:25], v[30:31]
	v_fma_f64 v[20:21], v[24:25], v[28:29], -v[20:21]
	v_fmac_f64_e32 v[30:31], v[26:27], v[28:29]
	v_add_f64 v[6:7], v[6:7], v[20:21]
	v_add_f64 v[4:5], v[4:5], v[30:31]
.LBB15_82:                              ;   in Loop: Header=BB15_79 Depth=3
	s_or_b64 exec, exec, s[50:51]
.LBB15_83:                              ;   in Loop: Header=BB15_79 Depth=3
	s_andn2_saveexec_b64 s[48:49], s[48:49]
	s_cbranch_execz .LBB15_85
; %bb.84:                               ;   in Loop: Header=BB15_79 Depth=3
	v_mov_b32_e32 v20, s53
	ds_read_b128 v[24:27], v20
	s_waitcnt lgkmcnt(0)
	v_add_f64 v[6:7], v[6:7], v[24:25]
	v_add_f64 v[4:5], v[4:5], v[26:27]
.LBB15_85:                              ;   in Loop: Header=BB15_79 Depth=3
	s_or_b64 exec, exec, s[48:49]
	v_cmp_ne_u32_e32 vcc, s52, v19
	s_or_b64 s[48:49], s[40:41], vcc
	s_and_saveexec_b64 s[50:51], s[48:49]
	s_xor_b64 s[48:49], exec, s[50:51]
	s_cbranch_execz .LBB15_89
; %bb.86:                               ;   in Loop: Header=BB15_79 Depth=3
	s_add_i32 s55, s54, 1
	s_cmp_lt_i32 s55, s5
	s_cselect_b64 s[50:51], -1, 0
	v_cmp_ge_i32_e32 vcc, s55, v12
	s_and_b64 s[56:57], s[50:51], vcc
	s_and_saveexec_b64 s[50:51], s[56:57]
	s_cbranch_execz .LBB15_88
; %bb.87:                               ;   in Loop: Header=BB15_79 Depth=3
	flat_load_dwordx4 v[24:27], v[8:9] offset:16
	v_mov_b32_e32 v20, s53
	ds_read_b128 v[28:31], v20 offset:16
	s_waitcnt vmcnt(0) lgkmcnt(0)
	v_mul_f64 v[20:21], v[26:27], v[30:31]
	v_mul_f64 v[30:31], v[24:25], v[30:31]
	v_fma_f64 v[20:21], v[24:25], v[28:29], -v[20:21]
	v_fmac_f64_e32 v[30:31], v[26:27], v[28:29]
	v_add_f64 v[6:7], v[6:7], v[20:21]
	v_add_f64 v[4:5], v[4:5], v[30:31]
.LBB15_88:                              ;   in Loop: Header=BB15_79 Depth=3
	s_or_b64 exec, exec, s[50:51]
.LBB15_89:                              ;   in Loop: Header=BB15_79 Depth=3
	s_andn2_saveexec_b64 s[48:49], s[48:49]
	s_cbranch_execz .LBB15_91
; %bb.90:                               ;   in Loop: Header=BB15_79 Depth=3
	v_mov_b32_e32 v20, s53
	ds_read_b128 v[24:27], v20 offset:16
	s_waitcnt lgkmcnt(0)
	v_add_f64 v[6:7], v[6:7], v[24:25]
	v_add_f64 v[4:5], v[4:5], v[26:27]
.LBB15_91:                              ;   in Loop: Header=BB15_79 Depth=3
	s_or_b64 exec, exec, s[48:49]
	v_cmp_ne_u32_e32 vcc, s52, v18
	s_or_b64 s[48:49], s[40:41], vcc
	s_and_saveexec_b64 s[50:51], s[48:49]
	s_xor_b64 s[48:49], exec, s[50:51]
	s_cbranch_execz .LBB15_95
; %bb.92:                               ;   in Loop: Header=BB15_79 Depth=3
	s_add_i32 s55, s54, 2
	s_cmp_lt_i32 s55, s5
	s_cselect_b64 s[50:51], -1, 0
	v_cmp_ge_i32_e32 vcc, s55, v12
	s_and_b64 s[56:57], s[50:51], vcc
	s_and_saveexec_b64 s[50:51], s[56:57]
	s_cbranch_execz .LBB15_94
; %bb.93:                               ;   in Loop: Header=BB15_79 Depth=3
	flat_load_dwordx4 v[24:27], v[8:9] offset:32
	v_mov_b32_e32 v20, s53
	ds_read_b128 v[28:31], v20 offset:32
	s_waitcnt vmcnt(0) lgkmcnt(0)
	v_mul_f64 v[20:21], v[26:27], v[30:31]
	v_mul_f64 v[30:31], v[24:25], v[30:31]
	v_fma_f64 v[20:21], v[24:25], v[28:29], -v[20:21]
	v_fmac_f64_e32 v[30:31], v[26:27], v[28:29]
	v_add_f64 v[6:7], v[6:7], v[20:21]
	v_add_f64 v[4:5], v[4:5], v[30:31]
.LBB15_94:                              ;   in Loop: Header=BB15_79 Depth=3
	s_or_b64 exec, exec, s[50:51]
.LBB15_95:                              ;   in Loop: Header=BB15_79 Depth=3
	s_andn2_saveexec_b64 s[48:49], s[48:49]
	s_cbranch_execz .LBB15_97
; %bb.96:                               ;   in Loop: Header=BB15_79 Depth=3
	v_mov_b32_e32 v20, s53
	ds_read_b128 v[24:27], v20 offset:32
	s_waitcnt lgkmcnt(0)
	v_add_f64 v[6:7], v[6:7], v[24:25]
	v_add_f64 v[4:5], v[4:5], v[26:27]
.LBB15_97:                              ;   in Loop: Header=BB15_79 Depth=3
	s_or_b64 exec, exec, s[48:49]
	v_cmp_ne_u32_e32 vcc, s52, v13
	s_or_b64 s[48:49], s[40:41], vcc
	s_and_saveexec_b64 s[50:51], s[48:49]
	s_xor_b64 s[48:49], exec, s[50:51]
	s_cbranch_execz .LBB15_101
; %bb.98:                               ;   in Loop: Header=BB15_79 Depth=3
	s_add_i32 s54, s54, 3
	s_cmp_lt_i32 s54, s5
	s_cselect_b64 s[50:51], -1, 0
	v_cmp_ge_i32_e32 vcc, s54, v12
	s_and_b64 s[54:55], s[50:51], vcc
	s_and_saveexec_b64 s[50:51], s[54:55]
	s_cbranch_execz .LBB15_100
; %bb.99:                               ;   in Loop: Header=BB15_79 Depth=3
	flat_load_dwordx4 v[24:27], v[8:9] offset:48
	v_mov_b32_e32 v20, s53
	ds_read_b128 v[28:31], v20 offset:48
	s_waitcnt vmcnt(0) lgkmcnt(0)
	v_mul_f64 v[20:21], v[26:27], v[30:31]
	v_mul_f64 v[30:31], v[24:25], v[30:31]
	v_fma_f64 v[20:21], v[24:25], v[28:29], -v[20:21]
	v_fmac_f64_e32 v[30:31], v[26:27], v[28:29]
	v_add_f64 v[6:7], v[6:7], v[20:21]
	v_add_f64 v[4:5], v[4:5], v[30:31]
.LBB15_100:                             ;   in Loop: Header=BB15_79 Depth=3
	s_or_b64 exec, exec, s[50:51]
.LBB15_101:                             ;   in Loop: Header=BB15_79 Depth=3
	s_andn2_saveexec_b64 s[48:49], s[48:49]
	s_cbranch_execz .LBB15_78
; %bb.102:                              ;   in Loop: Header=BB15_79 Depth=3
	v_mov_b32_e32 v20, s53
	ds_read_b128 v[24:27], v20 offset:48
	s_waitcnt lgkmcnt(0)
	v_add_f64 v[6:7], v[6:7], v[24:25]
	v_add_f64 v[4:5], v[4:5], v[26:27]
	s_branch .LBB15_78
.LBB15_103:                             ;   in Loop: Header=BB15_58 Depth=1
	s_or_b64 exec, exec, s[42:43]
.LBB15_104:                             ;   in Loop: Header=BB15_58 Depth=1
	s_and_saveexec_b64 s[42:43], s[0:1]
	s_cbranch_execz .LBB15_57
; %bb.105:                              ;   in Loop: Header=BB15_58 Depth=1
	v_mad_u64_u32 v[6:7], s[0:1], s8, v23, 0
	ds_read2_b64 v[2:5], v1 offset1:1
	v_mov_b32_e32 v8, v7
	v_mad_u64_u32 v[8:9], s[0:1], s9, v23, v[8:9]
	v_mov_b32_e32 v7, v8
	v_lshl_add_u64 v[6:7], v[6:7], 4, s[16:17]
	s_waitcnt lgkmcnt(0)
	flat_store_dwordx4 v[6:7], v[2:5]
	s_branch .LBB15_57
.LBB15_106:
	s_mov_b64 s[0:1], 0
.LBB15_107:
	s_andn2_b64 vcc, exec, s[0:1]
	s_cbranch_vccnz .LBB15_189
; %bb.108:
	s_mov_b64 s[0:1], -1
	s_and_b64 vcc, exec, s[26:27]
	s_cbranch_vccz .LBB15_149
; %bb.109:
	s_andn2_b64 vcc, exec, s[24:25]
	s_cbranch_vccnz .LBB15_148
; %bb.110:
	s_add_u32 s0, s20, s22
	s_addc_u32 s1, s21, s23
	s_add_u32 s26, s0, 8
	s_addc_u32 s27, s1, 0
	s_lshl_b64 s[28:29], s[12:13], 13
	s_lshl_b64 s[30:31], s[12:13], 4
	;; [unrolled: 1-line block ×3, first 2 shown]
	s_add_u32 s34, s20, s30
	s_addc_u32 s35, s21, s31
	s_add_u32 s4, s0, 0xffffffe0
	v_lshlrev_b32_e32 v1, 4, v0
	v_or_b32_e32 v14, 0x200, v0
	s_addc_u32 s7, s1, -1
	s_mov_b32 s33, 0
	s_mov_b64 s[36:37], -1
	s_mov_b64 s[38:39], 0
	s_xor_b64 s[40:41], s[18:19], -1
	v_mov_b32_e32 v17, 0
	s_mov_b64 s[42:43], 0
	s_mov_b64 s[44:45], s[14:15]
	s_branch .LBB15_112
.LBB15_111:                             ;   in Loop: Header=BB15_112 Depth=1
	s_or_b64 exec, exec, s[46:47]
	s_add_u32 s26, s26, s28
	s_addc_u32 s27, s27, s29
	s_add_u32 s44, s44, s28
	s_addc_u32 s45, s45, s29
	s_add_u32 s36, s36, 0xfffffe00
	s_addc_u32 s37, s37, -1
	s_add_u32 s42, s42, s28
	s_addc_u32 s43, s43, s29
	s_add_u32 s38, s38, 0xfffffe00
	v_add_u32_e32 v14, 0x200, v14
	s_addc_u32 s39, s39, -1
	s_and_b64 vcc, exec, s[2:3]
	s_mov_b32 s33, s62
	s_waitcnt lgkmcnt(0)
	s_barrier
	s_cbranch_vccnz .LBB15_148
.LBB15_112:                             ; =>This Loop Header: Depth=1
                                        ;     Child Loop BB15_116 Depth 2
                                        ;     Child Loop BB15_130 Depth 2
                                        ;       Child Loop BB15_133 Depth 3
	v_add_u32_e32 v18, s33, v0
	v_cmp_le_i32_e32 vcc, s5, v18
	v_cmp_gt_i32_e64 s[0:1], s5, v18
	s_and_saveexec_b64 s[2:3], s[0:1]
	s_cbranch_execz .LBB15_114
; %bb.113:                              ;   in Loop: Header=BB15_112 Depth=1
	v_mad_u64_u32 v[2:3], s[46:47], s8, v18, 0
	v_mov_b32_e32 v4, v3
	v_mad_u64_u32 v[4:5], s[46:47], s9, v18, v[4:5]
	v_mov_b32_e32 v3, v4
	v_lshl_add_u64 v[2:3], v[2:3], 4, s[16:17]
	flat_load_dwordx4 v[2:5], v[2:3]
	s_waitcnt vmcnt(0) lgkmcnt(0)
	ds_write2_b64 v1, v[2:3], v[4:5] offset1:1
.LBB15_114:                             ;   in Loop: Header=BB15_112 Depth=1
	s_or_b64 exec, exec, s[2:3]
	v_subrev_u32_e32 v15, s6, v18
	s_mov_b32 s54, 0
	s_xor_b64 s[46:47], vcc, -1
	s_mov_b64 s[48:49], s[44:45]
	s_mov_b64 s[50:51], s[26:27]
	v_mov_b32_e32 v16, v0
	s_mov_b32 s55, 0
	s_waitcnt lgkmcnt(0)
	s_barrier
	s_branch .LBB15_116
.LBB15_115:                             ;   in Loop: Header=BB15_116 Depth=2
                                        ; implicit-def: $sgpr55
                                        ; implicit-def: $sgpr54
                                        ; implicit-def: $sgpr50_sgpr51
                                        ; implicit-def: $sgpr48_sgpr49
	s_cbranch_execnz .LBB15_126
.LBB15_116:                             ;   Parent Loop BB15_112 Depth=1
                                        ; =>  This Inner Loop Header: Depth=2
	s_add_i32 s56, s33, s55
	s_cmp_ge_i32 s56, s5
	s_cbranch_scc1 .LBB15_115
; %bb.117:                              ;   in Loop: Header=BB15_116 Depth=2
	v_cmp_eq_u32_e32 vcc, s55, v0
	s_and_b64 s[52:53], s[40:41], vcc
	s_and_saveexec_b64 s[2:3], s[52:53]
	s_cbranch_execz .LBB15_123
; %bb.118:                              ;   in Loop: Header=BB15_116 Depth=2
	v_mov_b32_e32 v3, s51
	v_add_co_u32_e64 v2, vcc, -8, s50
	ds_read_b128 v[6:9], v1
	s_nop 0
	v_addc_co_u32_e32 v3, vcc, -1, v3, vcc
	flat_load_dwordx4 v[2:5], v[2:3]
                                        ; implicit-def: $vgpr10_vgpr11
	s_waitcnt vmcnt(0) lgkmcnt(0)
	v_cmp_ngt_f64_e64 s[52:53], |v[2:3]|, |v[4:5]|
	s_and_saveexec_b64 s[58:59], s[52:53]
	s_xor_b64 s[52:53], exec, s[58:59]
	s_cbranch_execz .LBB15_120
; %bb.119:                              ;   in Loop: Header=BB15_116 Depth=2
	v_div_scale_f64 v[10:11], s[58:59], v[4:5], v[4:5], v[2:3]
	v_rcp_f64_e32 v[12:13], v[10:11]
	v_div_scale_f64 v[20:21], vcc, v[2:3], v[4:5], v[2:3]
	v_fma_f64 v[22:23], -v[10:11], v[12:13], 1.0
	v_fmac_f64_e32 v[12:13], v[12:13], v[22:23]
	v_fma_f64 v[22:23], -v[10:11], v[12:13], 1.0
	v_fmac_f64_e32 v[12:13], v[12:13], v[22:23]
	v_mul_f64 v[22:23], v[20:21], v[12:13]
	v_fma_f64 v[10:11], -v[10:11], v[22:23], v[20:21]
	v_div_fmas_f64 v[10:11], v[10:11], v[12:13], v[22:23]
	v_div_fixup_f64 v[12:13], v[10:11], v[4:5], v[2:3]
	v_fmac_f64_e32 v[4:5], v[2:3], v[12:13]
	v_div_scale_f64 v[2:3], s[58:59], v[4:5], v[4:5], 1.0
	v_rcp_f64_e32 v[10:11], v[2:3]
	s_nop 0
	v_fma_f64 v[20:21], -v[2:3], v[10:11], 1.0
	v_fmac_f64_e32 v[10:11], v[10:11], v[20:21]
	v_fma_f64 v[20:21], -v[2:3], v[10:11], 1.0
	v_fmac_f64_e32 v[10:11], v[10:11], v[20:21]
	v_div_scale_f64 v[20:21], vcc, 1.0, v[4:5], 1.0
	v_mul_f64 v[22:23], v[20:21], v[10:11]
	v_fma_f64 v[2:3], -v[2:3], v[22:23], v[20:21]
	s_nop 1
	v_div_fmas_f64 v[2:3], v[2:3], v[10:11], v[22:23]
	v_div_fixup_f64 v[2:3], v[2:3], v[4:5], 1.0
	v_fma_f64 v[4:5], v[12:13], v[6:7], v[8:9]
	v_mul_f64 v[10:11], v[4:5], v[2:3]
	v_fma_f64 v[4:5], v[12:13], v[8:9], -v[6:7]
	v_mul_f64 v[12:13], v[2:3], v[4:5]
                                        ; implicit-def: $vgpr2_vgpr3
                                        ; implicit-def: $vgpr8_vgpr9
.LBB15_120:                             ;   in Loop: Header=BB15_116 Depth=2
	s_andn2_saveexec_b64 s[52:53], s[52:53]
	s_cbranch_execz .LBB15_122
; %bb.121:                              ;   in Loop: Header=BB15_116 Depth=2
	v_div_scale_f64 v[10:11], s[58:59], v[2:3], v[2:3], v[4:5]
	v_rcp_f64_e32 v[12:13], v[10:11]
	v_div_scale_f64 v[20:21], vcc, v[4:5], v[2:3], v[4:5]
	v_fma_f64 v[22:23], -v[10:11], v[12:13], 1.0
	v_fmac_f64_e32 v[12:13], v[12:13], v[22:23]
	v_fma_f64 v[22:23], -v[10:11], v[12:13], 1.0
	v_fmac_f64_e32 v[12:13], v[12:13], v[22:23]
	v_mul_f64 v[22:23], v[20:21], v[12:13]
	v_fma_f64 v[10:11], -v[10:11], v[22:23], v[20:21]
	v_div_fmas_f64 v[10:11], v[10:11], v[12:13], v[22:23]
	v_div_fixup_f64 v[12:13], v[10:11], v[2:3], v[4:5]
	v_fmac_f64_e32 v[2:3], v[4:5], v[12:13]
	v_div_scale_f64 v[4:5], s[58:59], v[2:3], v[2:3], 1.0
	v_rcp_f64_e32 v[10:11], v[4:5]
	s_nop 0
	v_fma_f64 v[20:21], -v[4:5], v[10:11], 1.0
	v_fmac_f64_e32 v[10:11], v[10:11], v[20:21]
	v_fma_f64 v[20:21], -v[4:5], v[10:11], 1.0
	v_fmac_f64_e32 v[10:11], v[10:11], v[20:21]
	v_div_scale_f64 v[20:21], vcc, 1.0, v[2:3], 1.0
	v_mul_f64 v[22:23], v[20:21], v[10:11]
	v_fma_f64 v[4:5], -v[4:5], v[22:23], v[20:21]
	s_nop 1
	v_div_fmas_f64 v[4:5], v[4:5], v[10:11], v[22:23]
	v_div_fixup_f64 v[2:3], v[4:5], v[2:3], 1.0
	v_fma_f64 v[4:5], v[12:13], v[8:9], v[6:7]
	v_mul_f64 v[10:11], v[2:3], v[4:5]
	v_fma_f64 v[4:5], -v[12:13], v[6:7], v[8:9]
	v_mul_f64 v[12:13], v[4:5], v[2:3]
.LBB15_122:                             ;   in Loop: Header=BB15_116 Depth=2
	s_or_b64 exec, exec, s[52:53]
	ds_write_b128 v1, v[10:13]
.LBB15_123:                             ;   in Loop: Header=BB15_116 Depth=2
	s_or_b64 exec, exec, s[2:3]
	v_cmp_lt_u32_e32 vcc, s55, v0
	v_cmp_ge_i32_e64 s[2:3], s56, v15
	s_and_b64 s[52:53], s[46:47], vcc
	s_and_b64 s[52:53], s[52:53], s[2:3]
	s_waitcnt lgkmcnt(0)
	s_barrier
	s_and_saveexec_b64 s[2:3], s[52:53]
	s_cbranch_execz .LBB15_125
; %bb.124:                              ;   in Loop: Header=BB15_116 Depth=2
	v_lshl_add_u64 v[2:3], v[16:17], 4, s[48:49]
	flat_load_dwordx4 v[2:5], v[2:3]
	v_mov_b32_e32 v6, s54
	ds_read_b128 v[6:9], v6
	ds_read_b128 v[10:13], v1
	s_waitcnt vmcnt(0) lgkmcnt(0)
	v_mul_f64 v[20:21], v[4:5], v[8:9]
	v_mul_f64 v[8:9], v[2:3], v[8:9]
	v_fma_f64 v[2:3], v[2:3], v[6:7], -v[20:21]
	v_fmac_f64_e32 v[8:9], v[4:5], v[6:7]
	v_add_f64 v[2:3], v[10:11], -v[2:3]
	v_add_f64 v[4:5], v[12:13], -v[8:9]
	ds_write_b128 v1, v[2:5]
.LBB15_125:                             ;   in Loop: Header=BB15_116 Depth=2
	s_or_b64 exec, exec, s[2:3]
	s_add_i32 s55, s55, 1
	s_add_i32 s54, s54, 16
	s_add_u32 s50, s50, s30
	s_addc_u32 s51, s51, s31
	s_add_u32 s48, s48, s30
	s_addc_u32 s49, s49, s31
	s_cmpk_eq_i32 s55, 0x200
	v_add_u32_e32 v16, -1, v16
	s_cselect_b64 s[2:3], -1, 0
	s_and_b64 vcc, exec, s[2:3]
	s_cbranch_vccz .LBB15_116
.LBB15_126:                             ;   in Loop: Header=BB15_112 Depth=1
	s_add_i32 s62, s33, 0x200
	s_cmp_ge_i32 s62, s5
	s_cselect_b64 s[2:3], -1, 0
	s_and_b64 vcc, exec, s[2:3]
	s_waitcnt lgkmcnt(0)
	s_barrier
	s_cbranch_vccnz .LBB15_146
; %bb.127:                              ;   in Loop: Header=BB15_112 Depth=1
	v_ashrrev_i32_e32 v15, 31, v14
	v_lshl_add_u64 v[2:3], s[36:37], 0, v[14:15]
	v_lshl_add_u64 v[4:5], s[38:39], 0, v[14:15]
	v_lshlrev_b64 v[2:3], 4, v[2:3]
	v_lshlrev_b64 v[4:5], 4, v[4:5]
	s_mov_b64 s[46:47], 0
	v_mov_b32_e32 v10, v0
	s_mov_b64 s[48:49], s[42:43]
	s_mov_b32 s63, s62
                                        ; implicit-def: $sgpr50_sgpr51
	s_branch .LBB15_130
.LBB15_128:                             ;   in Loop: Header=BB15_130 Depth=2
	v_mad_u64_u32 v[12:13], s[54:55], s8, v11, 0
	v_mov_b32_e32 v16, v13
	v_mad_u64_u32 v[20:21], s[54:55], s9, v11, v[16:17]
	v_mov_b32_e32 v13, v20
	v_lshl_add_u64 v[12:13], v[12:13], 4, s[16:17]
	flat_load_dwordx4 v[20:23], v[12:13]
	s_addk_i32 s63, 0x200
	s_add_u32 s48, s48, 0x2000
	s_addc_u32 s49, s49, 0
	s_cmp_ge_i32 s63, s5
	s_cselect_b64 s[54:55], -1, 0
	s_andn2_b64 s[50:51], s[50:51], exec
	s_and_b64 s[54:55], s[54:55], exec
	s_or_b64 s[50:51], s[50:51], s[54:55]
	s_waitcnt vmcnt(0) lgkmcnt(0)
	v_add_f64 v[20:21], v[20:21], -v[8:9]
	v_add_f64 v[22:23], v[22:23], -v[6:7]
	flat_store_dwordx4 v[12:13], v[20:23]
.LBB15_129:                             ;   in Loop: Header=BB15_130 Depth=2
	s_or_b64 exec, exec, s[52:53]
	s_and_b64 s[52:53], exec, s[50:51]
	s_or_b64 s[46:47], s[52:53], s[46:47]
	s_andn2_b64 exec, exec, s[46:47]
	s_cbranch_execz .LBB15_145
.LBB15_130:                             ;   Parent Loop BB15_112 Depth=1
                                        ; =>  This Loop Header: Depth=2
                                        ;       Child Loop BB15_133 Depth 3
	v_add_u32_e32 v11, s63, v0
	v_cmp_gt_i32_e32 vcc, s5, v11
	s_or_b64 s[50:51], s[50:51], exec
	s_and_saveexec_b64 s[52:53], vcc
	s_cbranch_execz .LBB15_129
; %bb.131:                              ;   in Loop: Header=BB15_130 Depth=2
	v_subrev_u32_e32 v12, s6, v11
	v_add_u32_e32 v13, 0x1ff, v10
	v_add_u32_e32 v10, 0x200, v10
	v_mov_b64_e32 v[6:7], 0
	s_mov_b32 s64, 0
	s_mov_b64 s[54:55], s[20:21]
	s_mov_b64 s[56:57], s[34:35]
	s_mov_b32 s65, 0
	v_mov_b64_e32 v[8:9], 0
	s_branch .LBB15_133
.LBB15_132:                             ;   in Loop: Header=BB15_133 Depth=3
	s_or_b64 exec, exec, s[58:59]
	s_add_i32 s65, s65, 2
	s_add_u32 s56, s56, s4
	s_addc_u32 s57, s57, s7
	s_add_i32 s64, s64, 32
	s_add_u32 s54, s54, s4
	s_addc_u32 s55, s55, s7
	s_cmpk_eq_i32 s65, 0x200
	s_cbranch_scc1 .LBB15_128
.LBB15_133:                             ;   Parent Loop BB15_112 Depth=1
                                        ;     Parent Loop BB15_130 Depth=2
                                        ; =>    This Inner Loop Header: Depth=3
	v_cmp_ne_u32_e32 vcc, s65, v10
	s_add_i32 s66, s33, s65
	s_or_b64 s[58:59], s[40:41], vcc
	s_and_saveexec_b64 s[60:61], s[58:59]
	s_xor_b64 s[58:59], exec, s[60:61]
	s_cbranch_execz .LBB15_137
; %bb.134:                              ;   in Loop: Header=BB15_133 Depth=3
	s_cmp_lt_i32 s66, s5
	s_cselect_b64 s[60:61], -1, 0
	v_cmp_ge_i32_e32 vcc, s66, v12
	s_and_b64 s[68:69], s[60:61], vcc
	s_and_saveexec_b64 s[60:61], s[68:69]
	s_cbranch_execz .LBB15_136
; %bb.135:                              ;   in Loop: Header=BB15_133 Depth=3
	s_add_u32 s68, s54, s22
	s_addc_u32 s69, s55, s23
	v_lshl_add_u64 v[20:21], s[68:69], 0, v[4:5]
	v_lshl_add_u64 v[20:21], v[20:21], 0, s[48:49]
	flat_load_dwordx4 v[20:23], v[20:21]
	v_mov_b32_e32 v15, s64
	ds_read_b128 v[24:27], v15
	s_waitcnt vmcnt(0) lgkmcnt(0)
	v_mul_f64 v[28:29], v[22:23], v[26:27]
	v_mul_f64 v[26:27], v[20:21], v[26:27]
	v_fma_f64 v[20:21], v[20:21], v[24:25], -v[28:29]
	v_fmac_f64_e32 v[26:27], v[22:23], v[24:25]
	v_add_f64 v[8:9], v[8:9], v[20:21]
	v_add_f64 v[6:7], v[6:7], v[26:27]
.LBB15_136:                             ;   in Loop: Header=BB15_133 Depth=3
	s_or_b64 exec, exec, s[60:61]
.LBB15_137:                             ;   in Loop: Header=BB15_133 Depth=3
	s_andn2_saveexec_b64 s[58:59], s[58:59]
	s_cbranch_execz .LBB15_139
; %bb.138:                              ;   in Loop: Header=BB15_133 Depth=3
	v_mov_b32_e32 v15, s64
	ds_read_b128 v[20:23], v15
	s_waitcnt lgkmcnt(0)
	v_add_f64 v[8:9], v[8:9], v[20:21]
	v_add_f64 v[6:7], v[6:7], v[22:23]
.LBB15_139:                             ;   in Loop: Header=BB15_133 Depth=3
	s_or_b64 exec, exec, s[58:59]
	v_cmp_ne_u32_e32 vcc, s65, v13
	s_or_b64 s[58:59], s[40:41], vcc
	s_and_saveexec_b64 s[60:61], s[58:59]
	s_xor_b64 s[58:59], exec, s[60:61]
	s_cbranch_execz .LBB15_143
; %bb.140:                              ;   in Loop: Header=BB15_133 Depth=3
	s_add_i32 s66, s66, 1
	s_cmp_lt_i32 s66, s5
	s_cselect_b64 s[60:61], -1, 0
	v_cmp_ge_i32_e32 vcc, s66, v12
	s_and_b64 s[66:67], s[60:61], vcc
	s_and_saveexec_b64 s[60:61], s[66:67]
	s_cbranch_execz .LBB15_142
; %bb.141:                              ;   in Loop: Header=BB15_133 Depth=3
	s_add_u32 s66, s56, s22
	s_addc_u32 s67, s57, s23
	v_lshl_add_u64 v[20:21], s[66:67], 0, v[2:3]
	v_lshl_add_u64 v[20:21], v[20:21], 0, s[48:49]
	flat_load_dwordx4 v[20:23], v[20:21]
	v_mov_b32_e32 v15, s64
	ds_read_b128 v[24:27], v15 offset:16
	s_waitcnt vmcnt(0) lgkmcnt(0)
	v_mul_f64 v[28:29], v[22:23], v[26:27]
	v_mul_f64 v[26:27], v[20:21], v[26:27]
	v_fma_f64 v[20:21], v[20:21], v[24:25], -v[28:29]
	v_fmac_f64_e32 v[26:27], v[22:23], v[24:25]
	v_add_f64 v[8:9], v[8:9], v[20:21]
	v_add_f64 v[6:7], v[6:7], v[26:27]
.LBB15_142:                             ;   in Loop: Header=BB15_133 Depth=3
	s_or_b64 exec, exec, s[60:61]
.LBB15_143:                             ;   in Loop: Header=BB15_133 Depth=3
	s_andn2_saveexec_b64 s[58:59], s[58:59]
	s_cbranch_execz .LBB15_132
; %bb.144:                              ;   in Loop: Header=BB15_133 Depth=3
	v_mov_b32_e32 v15, s64
	ds_read_b128 v[20:23], v15 offset:16
	s_waitcnt lgkmcnt(0)
	v_add_f64 v[8:9], v[8:9], v[20:21]
	v_add_f64 v[6:7], v[6:7], v[22:23]
	s_branch .LBB15_132
.LBB15_145:                             ;   in Loop: Header=BB15_112 Depth=1
	s_or_b64 exec, exec, s[46:47]
.LBB15_146:                             ;   in Loop: Header=BB15_112 Depth=1
	s_and_saveexec_b64 s[46:47], s[0:1]
	s_cbranch_execz .LBB15_111
; %bb.147:                              ;   in Loop: Header=BB15_112 Depth=1
	v_mad_u64_u32 v[6:7], s[0:1], s8, v18, 0
	ds_read2_b64 v[2:5], v1 offset1:1
	v_mov_b32_e32 v8, v7
	v_mad_u64_u32 v[8:9], s[0:1], s9, v18, v[8:9]
	v_mov_b32_e32 v7, v8
	v_lshl_add_u64 v[6:7], v[6:7], 4, s[16:17]
	s_waitcnt lgkmcnt(0)
	flat_store_dwordx4 v[6:7], v[2:5]
	s_branch .LBB15_111
.LBB15_148:
	s_mov_b64 s[0:1], 0
.LBB15_149:
	s_andn2_b64 vcc, exec, s[0:1]
	s_cbranch_vccnz .LBB15_189
; %bb.150:
	s_andn2_b64 vcc, exec, s[24:25]
	s_cbranch_vccnz .LBB15_189
; %bb.151:
	s_ashr_i32 s7, s6, 31
	s_add_i32 s30, s5, 0xfffffe00
	s_add_i32 s24, s5, -1
	s_lshl_b64 s[0:1], s[6:7], 4
	s_add_u32 s2, s22, s0
	s_addc_u32 s3, s23, s1
	s_ashr_i32 s25, s24, 31
	s_lshl_b64 s[0:1], s[24:25], 4
	s_sub_u32 s0, s2, s0
	s_subb_u32 s1, s3, s1
	s_add_u32 s22, s20, s0
	s_addc_u32 s23, s21, s1
	s_lshl_b64 s[26:27], s[12:13], 4
	s_add_u32 s4, s26, 16
	s_addc_u32 s25, s27, 0
	s_sub_i32 s0, s6, s5
	s_add_i32 s33, s0, 0x1ff
	s_add_u32 s0, s10, s6
	s_addc_u32 s1, s11, s7
	s_ashr_i32 s3, s5, 31
	s_mov_b32 s2, s5
	s_lshl_b64 s[0:1], s[0:1], 4
	s_lshl_b64 s[2:3], s[2:3], 4
	s_sub_u32 s0, s0, s2
	s_subb_u32 s1, s1, s3
	s_add_u32 s2, s20, s0
	s_addc_u32 s3, s21, s1
	s_add_u32 s7, s2, 0x2008
	s_addc_u32 s46, s3, 0
	s_lshl_b64 s[0:1], s[12:13], 5
	s_add_u32 s47, s0, 0xffffffe0
	s_addc_u32 s48, s1, -1
	v_mov_b32_e32 v1, 0x4000
	v_add_u32_e32 v2, s5, v0
	s_add_u32 s49, s2, 0x2000
	v_lshl_or_b32 v1, v0, 4, v1
	v_add_u32_e32 v14, 0xfffffe00, v2
	v_add_u32_e32 v20, 0xfffffc00, v2
	s_addc_u32 s50, s3, 0
	v_mov_b32_e32 v17, 0
	s_xor_b64 s[10:11], s[18:19], -1
	s_branch .LBB15_153
.LBB15_152:                             ;   in Loop: Header=BB15_153 Depth=1
	s_or_b64 exec, exec, s[18:19]
	s_addk_i32 s24, 0xfe00
	s_add_u32 s22, s22, 0x2000
	s_addc_u32 s23, s23, 0
	s_addk_i32 s5, 0xfe00
	s_addk_i32 s33, 0x200
	s_add_u32 s7, s7, 0x2000
	s_addc_u32 s46, s46, 0
	s_add_u32 s49, s49, 0x2000
	v_add_u32_e32 v14, 0xfffffe00, v14
	v_add_u32_e32 v20, 0xfffffe00, v20
	s_addc_u32 s50, s50, 0
	s_and_b64 vcc, exec, s[2:3]
	s_mov_b32 s30, s51
	s_waitcnt lgkmcnt(0)
	s_barrier
	s_cbranch_vccnz .LBB15_189
.LBB15_153:                             ; =>This Loop Header: Depth=1
                                        ;     Child Loop BB15_157 Depth 2
                                        ;     Child Loop BB15_171 Depth 2
                                        ;       Child Loop BB15_174 Depth 3
	v_add_u32_e32 v21, s30, v0
	v_cmp_gt_i32_e32 vcc, 0, v21
	v_cmp_lt_i32_e64 s[0:1], -1, v21
	s_and_saveexec_b64 s[2:3], s[0:1]
	s_cbranch_execz .LBB15_155
; %bb.154:                              ;   in Loop: Header=BB15_153 Depth=1
	v_mad_u64_u32 v[2:3], s[18:19], s8, v21, 0
	v_mov_b32_e32 v4, v3
	v_mad_u64_u32 v[4:5], s[18:19], s9, v21, v[4:5]
	v_mov_b32_e32 v3, v4
	v_lshl_add_u64 v[2:3], v[2:3], 4, s[16:17]
	flat_load_dwordx4 v[2:5], v[2:3]
	s_waitcnt vmcnt(0) lgkmcnt(0)
	ds_write2_b64 v1, v[2:3], v[4:5] offset1:1
.LBB15_155:                             ;   in Loop: Header=BB15_153 Depth=1
	s_or_b64 exec, exec, s[2:3]
	v_mov_b32_e32 v15, v17
	v_lshl_add_u64 v[18:19], v[14:15], 4, s[22:23]
	v_add_u32_e32 v15, s6, v21
	s_movk_i32 s31, 0x1ff
	s_movk_i32 s34, 0x5ff0
	s_xor_b64 s[18:19], vcc, -1
	s_mov_b32 s35, s24
	s_mov_b64 s[20:21], s[22:23]
	s_waitcnt lgkmcnt(0)
	s_barrier
	s_branch .LBB15_157
.LBB15_156:                             ;   in Loop: Header=BB15_157 Depth=2
                                        ; implicit-def: $sgpr31
                                        ; implicit-def: $sgpr34
                                        ; implicit-def: $sgpr20_sgpr21
                                        ; implicit-def: $sgpr35
                                        ; implicit-def: $vgpr18_vgpr19
	s_cbranch_execnz .LBB15_167
.LBB15_157:                             ;   Parent Loop BB15_153 Depth=1
                                        ; =>  This Inner Loop Header: Depth=2
	s_add_i32 s36, s24, s31
	s_addk_i32 s36, 0xfe01
	s_cmp_lt_i32 s36, 0
	s_cbranch_scc1 .LBB15_156
; %bb.158:                              ;   in Loop: Header=BB15_157 Depth=2
	v_cmp_eq_u32_e32 vcc, s31, v0
	s_and_b64 s[28:29], s[10:11], vcc
	s_and_saveexec_b64 s[2:3], s[28:29]
	s_cbranch_execz .LBB15_164
; %bb.159:                              ;   in Loop: Header=BB15_157 Depth=2
	s_mul_i32 s28, s25, s35
	s_mul_hi_u32 s29, s4, s35
	s_add_i32 s29, s29, s28
	s_mul_i32 s28, s4, s35
	s_add_u32 s28, s20, s28
	s_addc_u32 s29, s21, s29
	v_mov_b64_e32 v[2:3], s[28:29]
	flat_load_dwordx4 v[2:5], v[2:3]
	ds_read_b128 v[6:9], v1
                                        ; implicit-def: $vgpr10_vgpr11
	s_waitcnt vmcnt(0) lgkmcnt(0)
	v_cmp_ngt_f64_e64 s[28:29], |v[2:3]|, |v[4:5]|
	s_and_saveexec_b64 s[38:39], s[28:29]
	s_xor_b64 s[28:29], exec, s[38:39]
	s_cbranch_execz .LBB15_161
; %bb.160:                              ;   in Loop: Header=BB15_157 Depth=2
	v_div_scale_f64 v[10:11], s[38:39], v[4:5], v[4:5], v[2:3]
	v_rcp_f64_e32 v[12:13], v[10:11]
	v_div_scale_f64 v[22:23], vcc, v[2:3], v[4:5], v[2:3]
	v_fma_f64 v[24:25], -v[10:11], v[12:13], 1.0
	v_fmac_f64_e32 v[12:13], v[12:13], v[24:25]
	v_fma_f64 v[24:25], -v[10:11], v[12:13], 1.0
	v_fmac_f64_e32 v[12:13], v[12:13], v[24:25]
	v_mul_f64 v[24:25], v[22:23], v[12:13]
	v_fma_f64 v[10:11], -v[10:11], v[24:25], v[22:23]
	v_div_fmas_f64 v[10:11], v[10:11], v[12:13], v[24:25]
	v_div_fixup_f64 v[12:13], v[10:11], v[4:5], v[2:3]
	v_fmac_f64_e32 v[4:5], v[2:3], v[12:13]
	v_div_scale_f64 v[2:3], s[38:39], v[4:5], v[4:5], 1.0
	v_rcp_f64_e32 v[10:11], v[2:3]
	s_nop 0
	v_fma_f64 v[22:23], -v[2:3], v[10:11], 1.0
	v_fmac_f64_e32 v[10:11], v[10:11], v[22:23]
	v_fma_f64 v[22:23], -v[2:3], v[10:11], 1.0
	v_fmac_f64_e32 v[10:11], v[10:11], v[22:23]
	v_div_scale_f64 v[22:23], vcc, 1.0, v[4:5], 1.0
	v_mul_f64 v[24:25], v[22:23], v[10:11]
	v_fma_f64 v[2:3], -v[2:3], v[24:25], v[22:23]
	s_nop 1
	v_div_fmas_f64 v[2:3], v[2:3], v[10:11], v[24:25]
	v_div_fixup_f64 v[2:3], v[2:3], v[4:5], 1.0
	v_fma_f64 v[4:5], v[12:13], v[6:7], v[8:9]
	v_mul_f64 v[10:11], v[4:5], v[2:3]
	v_fma_f64 v[4:5], v[12:13], v[8:9], -v[6:7]
	v_mul_f64 v[12:13], v[2:3], v[4:5]
                                        ; implicit-def: $vgpr2_vgpr3
                                        ; implicit-def: $vgpr8_vgpr9
.LBB15_161:                             ;   in Loop: Header=BB15_157 Depth=2
	s_andn2_saveexec_b64 s[28:29], s[28:29]
	s_cbranch_execz .LBB15_163
; %bb.162:                              ;   in Loop: Header=BB15_157 Depth=2
	v_div_scale_f64 v[10:11], s[38:39], v[2:3], v[2:3], v[4:5]
	v_rcp_f64_e32 v[12:13], v[10:11]
	v_div_scale_f64 v[22:23], vcc, v[4:5], v[2:3], v[4:5]
	v_fma_f64 v[24:25], -v[10:11], v[12:13], 1.0
	v_fmac_f64_e32 v[12:13], v[12:13], v[24:25]
	v_fma_f64 v[24:25], -v[10:11], v[12:13], 1.0
	v_fmac_f64_e32 v[12:13], v[12:13], v[24:25]
	v_mul_f64 v[24:25], v[22:23], v[12:13]
	v_fma_f64 v[10:11], -v[10:11], v[24:25], v[22:23]
	v_div_fmas_f64 v[10:11], v[10:11], v[12:13], v[24:25]
	v_div_fixup_f64 v[12:13], v[10:11], v[2:3], v[4:5]
	v_fmac_f64_e32 v[2:3], v[4:5], v[12:13]
	v_div_scale_f64 v[4:5], s[38:39], v[2:3], v[2:3], 1.0
	v_rcp_f64_e32 v[10:11], v[4:5]
	s_nop 0
	v_fma_f64 v[22:23], -v[4:5], v[10:11], 1.0
	v_fmac_f64_e32 v[10:11], v[10:11], v[22:23]
	v_fma_f64 v[22:23], -v[4:5], v[10:11], 1.0
	v_fmac_f64_e32 v[10:11], v[10:11], v[22:23]
	v_div_scale_f64 v[22:23], vcc, 1.0, v[2:3], 1.0
	v_mul_f64 v[24:25], v[22:23], v[10:11]
	v_fma_f64 v[4:5], -v[4:5], v[24:25], v[22:23]
	s_nop 1
	v_div_fmas_f64 v[4:5], v[4:5], v[10:11], v[24:25]
	v_div_fixup_f64 v[2:3], v[4:5], v[2:3], 1.0
	v_fma_f64 v[4:5], v[12:13], v[8:9], v[6:7]
	v_mul_f64 v[10:11], v[2:3], v[4:5]
	v_fma_f64 v[4:5], -v[12:13], v[6:7], v[8:9]
	v_mul_f64 v[12:13], v[4:5], v[2:3]
.LBB15_163:                             ;   in Loop: Header=BB15_157 Depth=2
	s_or_b64 exec, exec, s[28:29]
	ds_write_b128 v1, v[10:13]
.LBB15_164:                             ;   in Loop: Header=BB15_157 Depth=2
	s_or_b64 exec, exec, s[2:3]
	v_cmp_gt_u32_e32 vcc, s31, v0
	v_cmp_le_i32_e64 s[2:3], s36, v15
	s_and_b64 s[28:29], s[18:19], vcc
	s_and_b64 s[28:29], s[28:29], s[2:3]
	s_waitcnt lgkmcnt(0)
	s_barrier
	s_and_saveexec_b64 s[2:3], s[28:29]
	s_cbranch_execz .LBB15_166
; %bb.165:                              ;   in Loop: Header=BB15_157 Depth=2
	v_mov_b32_e32 v2, s35
	v_mad_u64_u32 v[2:3], s[28:29], s26, v2, v[18:19]
	s_mul_i32 s28, s27, s35
	s_nop 0
	v_add_u32_e32 v3, s28, v3
	flat_load_dwordx4 v[2:5], v[2:3]
	v_mov_b32_e32 v6, s34
	ds_read_b128 v[6:9], v6
	ds_read_b128 v[10:13], v1
	s_waitcnt vmcnt(0) lgkmcnt(0)
	v_mul_f64 v[22:23], v[4:5], v[8:9]
	v_mul_f64 v[8:9], v[2:3], v[8:9]
	v_fma_f64 v[2:3], v[2:3], v[6:7], -v[22:23]
	v_fmac_f64_e32 v[8:9], v[4:5], v[6:7]
	v_add_f64 v[2:3], v[10:11], -v[2:3]
	v_add_f64 v[4:5], v[12:13], -v[8:9]
	ds_write_b128 v1, v[2:5]
.LBB15_166:                             ;   in Loop: Header=BB15_157 Depth=2
	s_or_b64 exec, exec, s[2:3]
	s_add_i32 s31, s31, -1
	s_add_i32 s34, s34, -16
	s_add_u32 s20, s20, 16
	s_addc_u32 s21, s21, 0
	s_add_i32 s35, s35, -1
	s_cmp_eq_u32 s31, -1
	v_lshl_add_u64 v[18:19], v[18:19], 0, 16
	s_cselect_b64 s[2:3], -1, 0
	s_and_b64 vcc, exec, s[2:3]
	s_cbranch_vccz .LBB15_157
.LBB15_167:                             ;   in Loop: Header=BB15_153 Depth=1
	s_add_i32 s51, s30, 0xfffffe00
	s_cmp_lt_i32 s30, 1
	s_cselect_b64 s[2:3], -1, 0
	s_and_b64 vcc, exec, s[2:3]
	s_waitcnt lgkmcnt(0)
	s_barrier
	s_cbranch_vccnz .LBB15_187
; %bb.168:                              ;   in Loop: Header=BB15_153 Depth=1
	s_mul_i32 s18, s27, s30
	s_mul_hi_u32 s19, s26, s30
	s_add_i32 s21, s19, s18
	s_mul_i32 s20, s26, s30
	s_add_u32 s18, s7, s20
	s_addc_u32 s19, s46, s21
	s_add_u32 s20, s49, s20
	s_addc_u32 s21, s50, s21
	s_mov_b64 s[28:29], 0
	v_mov_b32_e32 v2, v20
	v_mov_b32_e32 v12, v0
	s_mov_b32 s52, s51
                                        ; implicit-def: $sgpr30_sgpr31
	s_branch .LBB15_171
.LBB15_169:                             ;   in Loop: Header=BB15_171 Depth=2
	v_mad_u64_u32 v[8:9], s[36:37], s8, v16, 0
	v_mov_b32_e32 v10, v9
	v_mad_u64_u32 v[10:11], s[36:37], s9, v16, v[10:11]
	v_mov_b32_e32 v9, v10
	v_lshl_add_u64 v[18:19], v[8:9], 4, s[16:17]
	flat_load_dwordx4 v[8:11], v[18:19]
	s_add_i32 s38, s52, 0xfffffe00
	s_cmp_lt_i32 s52, 1
	s_cselect_b64 s[36:37], -1, 0
	s_andn2_b64 s[30:31], s[30:31], exec
	s_and_b64 s[36:37], s[36:37], exec
	v_add_u32_e32 v2, 0xfffffe00, v2
	s_or_b64 s[30:31], s[30:31], s[36:37]
	s_mov_b32 s52, s38
	s_waitcnt vmcnt(0) lgkmcnt(0)
	v_add_f64 v[6:7], v[8:9], -v[6:7]
	v_add_f64 v[8:9], v[10:11], -v[4:5]
	flat_store_dwordx4 v[18:19], v[6:9]
.LBB15_170:                             ;   in Loop: Header=BB15_171 Depth=2
	s_or_b64 exec, exec, s[34:35]
	s_and_b64 s[34:35], exec, s[30:31]
	s_or_b64 s[28:29], s[34:35], s[28:29]
	s_andn2_b64 exec, exec, s[28:29]
	s_cbranch_execz .LBB15_186
.LBB15_171:                             ;   Parent Loop BB15_153 Depth=1
                                        ; =>  This Loop Header: Depth=2
                                        ;       Child Loop BB15_174 Depth 3
	v_add_u32_e32 v16, s52, v0
	v_cmp_lt_i32_e32 vcc, -1, v16
	s_or_b64 s[30:31], s[30:31], exec
	s_and_saveexec_b64 s[34:35], vcc
	s_cbranch_execz .LBB15_170
; %bb.172:                              ;   in Loop: Header=BB15_171 Depth=2
	v_mov_b32_e32 v3, v17
	v_lshlrev_b64 v[8:9], 4, v[2:3]
	v_lshl_add_u64 v[10:11], v[16:17], 4, s[14:15]
	v_add_u32_e32 v3, s6, v16
	v_add_u32_e32 v13, 0xfffffdff, v12
	;; [unrolled: 1-line block ×3, first 2 shown]
	v_mov_b64_e32 v[4:5], 0
	s_mov_b32 s53, 0
	s_movk_i32 s54, 0x4000
	s_mov_b64 s[36:37], s[20:21]
	s_mov_b64 s[38:39], s[18:19]
	s_mov_b32 s40, s33
	v_mov_b64_e32 v[6:7], 0
	s_branch .LBB15_174
.LBB15_173:                             ;   in Loop: Header=BB15_174 Depth=3
	s_or_b64 exec, exec, s[42:43]
	s_add_i32 s53, s53, 2
	s_add_i32 s54, s54, 32
	s_add_i32 s40, s40, -2
	s_add_u32 s38, s38, s47
	s_addc_u32 s39, s39, s48
	s_add_u32 s36, s36, s47
	s_addc_u32 s37, s37, s48
	s_cmpk_eq_i32 s53, 0x200
	s_cbranch_scc1 .LBB15_169
.LBB15_174:                             ;   Parent Loop BB15_153 Depth=1
                                        ;     Parent Loop BB15_171 Depth=2
                                        ; =>    This Inner Loop Header: Depth=3
	v_cmp_ne_u32_e32 vcc, s53, v12
	s_add_i32 s41, s5, s53
	s_or_b64 s[42:43], s[10:11], vcc
	s_and_saveexec_b64 s[44:45], s[42:43]
	s_xor_b64 s[42:43], exec, s[44:45]
	s_cbranch_execz .LBB15_178
; %bb.175:                              ;   in Loop: Header=BB15_174 Depth=3
	s_add_i32 s44, s41, 0xfffffe00
	v_cmp_le_i32_e32 vcc, s44, v3
	s_and_saveexec_b64 s[44:45], vcc
	s_cbranch_execz .LBB15_177
; %bb.176:                              ;   in Loop: Header=BB15_174 Depth=3
	v_lshl_add_u64 v[18:19], s[36:37], 0, v[8:9]
	v_lshl_add_u64 v[22:23], s[38:39], 0, v[8:9]
	flat_load_dwordx2 v[26:27], v[22:23]
	s_nop 0
	flat_load_dwordx2 v[18:19], v[18:19]
	v_mov_b32_e32 v15, s54
	ds_read_b128 v[22:25], v15
	s_waitcnt vmcnt(0) lgkmcnt(0)
	v_mul_f64 v[28:29], v[26:27], v[24:25]
	v_mul_f64 v[24:25], v[18:19], v[24:25]
	v_fma_f64 v[18:19], v[18:19], v[22:23], -v[28:29]
	v_fmac_f64_e32 v[24:25], v[26:27], v[22:23]
	v_add_f64 v[6:7], v[6:7], v[18:19]
	v_add_f64 v[4:5], v[4:5], v[24:25]
.LBB15_177:                             ;   in Loop: Header=BB15_174 Depth=3
	s_or_b64 exec, exec, s[44:45]
.LBB15_178:                             ;   in Loop: Header=BB15_174 Depth=3
	s_andn2_saveexec_b64 s[42:43], s[42:43]
	s_cbranch_execz .LBB15_180
; %bb.179:                              ;   in Loop: Header=BB15_174 Depth=3
	v_mov_b32_e32 v15, s54
	ds_read_b128 v[22:25], v15
	s_waitcnt lgkmcnt(0)
	v_add_f64 v[6:7], v[6:7], v[22:23]
	v_add_f64 v[4:5], v[4:5], v[24:25]
.LBB15_180:                             ;   in Loop: Header=BB15_174 Depth=3
	s_or_b64 exec, exec, s[42:43]
	v_cmp_ne_u32_e32 vcc, s53, v13
	s_or_b64 s[42:43], s[10:11], vcc
	s_and_saveexec_b64 s[44:45], s[42:43]
	s_xor_b64 s[42:43], exec, s[44:45]
	s_cbranch_execz .LBB15_184
; %bb.181:                              ;   in Loop: Header=BB15_174 Depth=3
	s_addk_i32 s41, 0xfe01
	v_cmp_le_i32_e32 vcc, s41, v3
	s_and_saveexec_b64 s[44:45], vcc
	s_cbranch_execz .LBB15_183
; %bb.182:                              ;   in Loop: Header=BB15_174 Depth=3
	s_mul_i32 s55, s13, s41
	s_mul_hi_u32 s56, s12, s41
	s_add_i32 s57, s56, s55
	s_mul_i32 s56, s12, s41
	s_ashr_i32 s41, s40, 31
	v_lshl_add_u64 v[18:19], s[56:57], 4, v[10:11]
	v_lshl_add_u64 v[18:19], s[40:41], 4, v[18:19]
	flat_load_dwordx4 v[22:25], v[18:19]
	v_mov_b32_e32 v15, s54
	ds_read_b128 v[26:29], v15 offset:16
	s_waitcnt vmcnt(0) lgkmcnt(0)
	v_mul_f64 v[18:19], v[24:25], v[28:29]
	v_mul_f64 v[28:29], v[22:23], v[28:29]
	v_fma_f64 v[18:19], v[22:23], v[26:27], -v[18:19]
	v_fmac_f64_e32 v[28:29], v[24:25], v[26:27]
	v_add_f64 v[6:7], v[6:7], v[18:19]
	v_add_f64 v[4:5], v[4:5], v[28:29]
.LBB15_183:                             ;   in Loop: Header=BB15_174 Depth=3
	s_or_b64 exec, exec, s[44:45]
.LBB15_184:                             ;   in Loop: Header=BB15_174 Depth=3
	s_andn2_saveexec_b64 s[42:43], s[42:43]
	s_cbranch_execz .LBB15_173
; %bb.185:                              ;   in Loop: Header=BB15_174 Depth=3
	v_mov_b32_e32 v15, s54
	ds_read_b128 v[22:25], v15 offset:16
	s_waitcnt lgkmcnt(0)
	v_add_f64 v[6:7], v[6:7], v[22:23]
	v_add_f64 v[4:5], v[4:5], v[24:25]
	s_branch .LBB15_173
.LBB15_186:                             ;   in Loop: Header=BB15_153 Depth=1
	s_or_b64 exec, exec, s[28:29]
.LBB15_187:                             ;   in Loop: Header=BB15_153 Depth=1
	s_and_saveexec_b64 s[18:19], s[0:1]
	s_cbranch_execz .LBB15_152
; %bb.188:                              ;   in Loop: Header=BB15_153 Depth=1
	v_mad_u64_u32 v[6:7], s[0:1], s8, v21, 0
	ds_read2_b64 v[2:5], v1 offset1:1
	v_mov_b32_e32 v8, v7
	v_mad_u64_u32 v[8:9], s[0:1], s9, v21, v[8:9]
	v_mov_b32_e32 v7, v8
	v_lshl_add_u64 v[6:7], v[6:7], 4, s[16:17]
	s_waitcnt lgkmcnt(0)
	flat_store_dwordx4 v[6:7], v[2:5]
	s_branch .LBB15_152
.LBB15_189:
	s_endpgm
	.section	.rodata,"a",@progbits
	.p2align	6, 0x0
	.amdhsa_kernel _ZL19rocblas_tbsv_kernelILb0ELi512EPKPK19rocblas_complex_numIdEPKPS1_Ev18rocblas_operation_bbiiT1_lllT2_lll
		.amdhsa_group_segment_fixed_size 32768
		.amdhsa_private_segment_fixed_size 0
		.amdhsa_kernarg_size 80
		.amdhsa_user_sgpr_count 2
		.amdhsa_user_sgpr_dispatch_ptr 0
		.amdhsa_user_sgpr_queue_ptr 0
		.amdhsa_user_sgpr_kernarg_segment_ptr 1
		.amdhsa_user_sgpr_dispatch_id 0
		.amdhsa_user_sgpr_kernarg_preload_length 0
		.amdhsa_user_sgpr_kernarg_preload_offset 0
		.amdhsa_user_sgpr_private_segment_size 0
		.amdhsa_uses_dynamic_stack 0
		.amdhsa_enable_private_segment 0
		.amdhsa_system_sgpr_workgroup_id_x 1
		.amdhsa_system_sgpr_workgroup_id_y 0
		.amdhsa_system_sgpr_workgroup_id_z 0
		.amdhsa_system_sgpr_workgroup_info 0
		.amdhsa_system_vgpr_workitem_id 0
		.amdhsa_next_free_vgpr 32
		.amdhsa_next_free_sgpr 70
		.amdhsa_accum_offset 32
		.amdhsa_reserve_vcc 1
		.amdhsa_float_round_mode_32 0
		.amdhsa_float_round_mode_16_64 0
		.amdhsa_float_denorm_mode_32 3
		.amdhsa_float_denorm_mode_16_64 3
		.amdhsa_dx10_clamp 1
		.amdhsa_ieee_mode 1
		.amdhsa_fp16_overflow 0
		.amdhsa_tg_split 0
		.amdhsa_exception_fp_ieee_invalid_op 0
		.amdhsa_exception_fp_denorm_src 0
		.amdhsa_exception_fp_ieee_div_zero 0
		.amdhsa_exception_fp_ieee_overflow 0
		.amdhsa_exception_fp_ieee_underflow 0
		.amdhsa_exception_fp_ieee_inexact 0
		.amdhsa_exception_int_div_zero 0
	.end_amdhsa_kernel
	.section	.text._ZL19rocblas_tbsv_kernelILb0ELi512EPKPK19rocblas_complex_numIdEPKPS1_Ev18rocblas_operation_bbiiT1_lllT2_lll,"axG",@progbits,_ZL19rocblas_tbsv_kernelILb0ELi512EPKPK19rocblas_complex_numIdEPKPS1_Ev18rocblas_operation_bbiiT1_lllT2_lll,comdat
.Lfunc_end15:
	.size	_ZL19rocblas_tbsv_kernelILb0ELi512EPKPK19rocblas_complex_numIdEPKPS1_Ev18rocblas_operation_bbiiT1_lllT2_lll, .Lfunc_end15-_ZL19rocblas_tbsv_kernelILb0ELi512EPKPK19rocblas_complex_numIdEPKPS1_Ev18rocblas_operation_bbiiT1_lllT2_lll
                                        ; -- End function
	.set _ZL19rocblas_tbsv_kernelILb0ELi512EPKPK19rocblas_complex_numIdEPKPS1_Ev18rocblas_operation_bbiiT1_lllT2_lll.num_vgpr, 32
	.set _ZL19rocblas_tbsv_kernelILb0ELi512EPKPK19rocblas_complex_numIdEPKPS1_Ev18rocblas_operation_bbiiT1_lllT2_lll.num_agpr, 0
	.set _ZL19rocblas_tbsv_kernelILb0ELi512EPKPK19rocblas_complex_numIdEPKPS1_Ev18rocblas_operation_bbiiT1_lllT2_lll.numbered_sgpr, 70
	.set _ZL19rocblas_tbsv_kernelILb0ELi512EPKPK19rocblas_complex_numIdEPKPS1_Ev18rocblas_operation_bbiiT1_lllT2_lll.num_named_barrier, 0
	.set _ZL19rocblas_tbsv_kernelILb0ELi512EPKPK19rocblas_complex_numIdEPKPS1_Ev18rocblas_operation_bbiiT1_lllT2_lll.private_seg_size, 0
	.set _ZL19rocblas_tbsv_kernelILb0ELi512EPKPK19rocblas_complex_numIdEPKPS1_Ev18rocblas_operation_bbiiT1_lllT2_lll.uses_vcc, 1
	.set _ZL19rocblas_tbsv_kernelILb0ELi512EPKPK19rocblas_complex_numIdEPKPS1_Ev18rocblas_operation_bbiiT1_lllT2_lll.uses_flat_scratch, 0
	.set _ZL19rocblas_tbsv_kernelILb0ELi512EPKPK19rocblas_complex_numIdEPKPS1_Ev18rocblas_operation_bbiiT1_lllT2_lll.has_dyn_sized_stack, 0
	.set _ZL19rocblas_tbsv_kernelILb0ELi512EPKPK19rocblas_complex_numIdEPKPS1_Ev18rocblas_operation_bbiiT1_lllT2_lll.has_recursion, 0
	.set _ZL19rocblas_tbsv_kernelILb0ELi512EPKPK19rocblas_complex_numIdEPKPS1_Ev18rocblas_operation_bbiiT1_lllT2_lll.has_indirect_call, 0
	.section	.AMDGPU.csdata,"",@progbits
; Kernel info:
; codeLenInByte = 7944
; TotalNumSgprs: 76
; NumVgprs: 32
; NumAgprs: 0
; TotalNumVgprs: 32
; ScratchSize: 0
; MemoryBound: 0
; FloatMode: 240
; IeeeMode: 1
; LDSByteSize: 32768 bytes/workgroup (compile time only)
; SGPRBlocks: 9
; VGPRBlocks: 3
; NumSGPRsForWavesPerEU: 76
; NumVGPRsForWavesPerEU: 32
; AccumOffset: 32
; Occupancy: 8
; WaveLimiterHint : 1
; COMPUTE_PGM_RSRC2:SCRATCH_EN: 0
; COMPUTE_PGM_RSRC2:USER_SGPR: 2
; COMPUTE_PGM_RSRC2:TRAP_HANDLER: 0
; COMPUTE_PGM_RSRC2:TGID_X_EN: 1
; COMPUTE_PGM_RSRC2:TGID_Y_EN: 0
; COMPUTE_PGM_RSRC2:TGID_Z_EN: 0
; COMPUTE_PGM_RSRC2:TIDIG_COMP_CNT: 0
; COMPUTE_PGM_RSRC3_GFX90A:ACCUM_OFFSET: 7
; COMPUTE_PGM_RSRC3_GFX90A:TG_SPLIT: 0
	.section	.AMDGPU.gpr_maximums,"",@progbits
	.set amdgpu.max_num_vgpr, 0
	.set amdgpu.max_num_agpr, 0
	.set amdgpu.max_num_sgpr, 0
	.section	.AMDGPU.csdata,"",@progbits
	.type	__hip_cuid_10aad62761a27c56,@object ; @__hip_cuid_10aad62761a27c56
	.section	.bss,"aw",@nobits
	.globl	__hip_cuid_10aad62761a27c56
__hip_cuid_10aad62761a27c56:
	.byte	0                               ; 0x0
	.size	__hip_cuid_10aad62761a27c56, 1

	.ident	"AMD clang version 22.0.0git (https://github.com/RadeonOpenCompute/llvm-project roc-7.2.4 26084 f58b06dce1f9c15707c5f808fd002e18c2accf7e)"
	.section	".note.GNU-stack","",@progbits
	.addrsig
	.addrsig_sym __hip_cuid_10aad62761a27c56
	.amdgpu_metadata
---
amdhsa.kernels:
  - .agpr_count:     0
    .args:
      - .offset:         0
        .size:           4
        .value_kind:     by_value
      - .offset:         4
        .size:           1
        .value_kind:     by_value
      - .offset:         5
        .size:           1
        .value_kind:     by_value
      - .offset:         8
        .size:           4
        .value_kind:     by_value
      - .offset:         12
        .size:           4
        .value_kind:     by_value
      - .address_space:  global
        .offset:         16
        .size:           8
        .value_kind:     global_buffer
      - .offset:         24
        .size:           8
        .value_kind:     by_value
      - .offset:         32
        .size:           8
        .value_kind:     by_value
      - .offset:         40
        .size:           8
        .value_kind:     by_value
      - .address_space:  global
        .offset:         48
        .size:           8
        .value_kind:     global_buffer
      - .offset:         56
        .size:           8
        .value_kind:     by_value
      - .offset:         64
        .size:           8
        .value_kind:     by_value
      - .offset:         72
        .size:           8
        .value_kind:     by_value
    .group_segment_fixed_size: 8192
    .kernarg_segment_align: 8
    .kernarg_segment_size: 80
    .language:       OpenCL C
    .language_version:
      - 2
      - 0
    .max_flat_workgroup_size: 512
    .name:           _ZL19rocblas_tbsv_kernelILb1ELi512EPKfPfEv18rocblas_operation_bbiiT1_lllT2_lll
    .private_segment_fixed_size: 0
    .sgpr_count:     74
    .sgpr_spill_count: 0
    .symbol:         _ZL19rocblas_tbsv_kernelILb1ELi512EPKfPfEv18rocblas_operation_bbiiT1_lllT2_lll.kd
    .uniform_work_group_size: 1
    .uses_dynamic_stack: false
    .vgpr_count:     22
    .vgpr_spill_count: 0
    .wavefront_size: 64
  - .agpr_count:     0
    .args:
      - .offset:         0
        .size:           4
        .value_kind:     by_value
      - .offset:         4
        .size:           1
        .value_kind:     by_value
      - .offset:         5
        .size:           1
        .value_kind:     by_value
      - .offset:         8
        .size:           4
        .value_kind:     by_value
      - .offset:         12
        .size:           4
        .value_kind:     by_value
      - .address_space:  global
        .offset:         16
        .size:           8
        .value_kind:     global_buffer
      - .offset:         24
        .size:           8
        .value_kind:     by_value
      - .offset:         32
        .size:           8
        .value_kind:     by_value
      - .offset:         40
        .size:           8
        .value_kind:     by_value
      - .address_space:  global
        .offset:         48
        .size:           8
        .value_kind:     global_buffer
      - .offset:         56
        .size:           8
        .value_kind:     by_value
      - .offset:         64
        .size:           8
        .value_kind:     by_value
      - .offset:         72
        .size:           8
        .value_kind:     by_value
    .group_segment_fixed_size: 8192
    .kernarg_segment_align: 8
    .kernarg_segment_size: 80
    .language:       OpenCL C
    .language_version:
      - 2
      - 0
    .max_flat_workgroup_size: 512
    .name:           _ZL19rocblas_tbsv_kernelILb0ELi512EPKfPfEv18rocblas_operation_bbiiT1_lllT2_lll
    .private_segment_fixed_size: 0
    .sgpr_count:     74
    .sgpr_spill_count: 0
    .symbol:         _ZL19rocblas_tbsv_kernelILb0ELi512EPKfPfEv18rocblas_operation_bbiiT1_lllT2_lll.kd
    .uniform_work_group_size: 1
    .uses_dynamic_stack: false
    .vgpr_count:     22
    .vgpr_spill_count: 0
    .wavefront_size: 64
  - .agpr_count:     0
    .args:
      - .offset:         0
        .size:           4
        .value_kind:     by_value
      - .offset:         4
        .size:           1
        .value_kind:     by_value
      - .offset:         5
        .size:           1
        .value_kind:     by_value
      - .offset:         8
        .size:           4
        .value_kind:     by_value
      - .offset:         12
        .size:           4
        .value_kind:     by_value
      - .address_space:  global
        .offset:         16
        .size:           8
        .value_kind:     global_buffer
      - .offset:         24
        .size:           8
        .value_kind:     by_value
      - .offset:         32
        .size:           8
        .value_kind:     by_value
      - .offset:         40
        .size:           8
        .value_kind:     by_value
      - .address_space:  global
        .offset:         48
        .size:           8
        .value_kind:     global_buffer
      - .offset:         56
        .size:           8
        .value_kind:     by_value
      - .offset:         64
        .size:           8
        .value_kind:     by_value
      - .offset:         72
        .size:           8
        .value_kind:     by_value
    .group_segment_fixed_size: 16384
    .kernarg_segment_align: 8
    .kernarg_segment_size: 80
    .language:       OpenCL C
    .language_version:
      - 2
      - 0
    .max_flat_workgroup_size: 512
    .name:           _ZL19rocblas_tbsv_kernelILb1ELi512EPKdPdEv18rocblas_operation_bbiiT1_lllT2_lll
    .private_segment_fixed_size: 0
    .sgpr_count:     74
    .sgpr_spill_count: 0
    .symbol:         _ZL19rocblas_tbsv_kernelILb1ELi512EPKdPdEv18rocblas_operation_bbiiT1_lllT2_lll.kd
    .uniform_work_group_size: 1
    .uses_dynamic_stack: false
    .vgpr_count:     26
    .vgpr_spill_count: 0
    .wavefront_size: 64
  - .agpr_count:     0
    .args:
      - .offset:         0
        .size:           4
        .value_kind:     by_value
      - .offset:         4
        .size:           1
        .value_kind:     by_value
      - .offset:         5
        .size:           1
        .value_kind:     by_value
      - .offset:         8
        .size:           4
        .value_kind:     by_value
      - .offset:         12
        .size:           4
        .value_kind:     by_value
      - .address_space:  global
        .offset:         16
        .size:           8
        .value_kind:     global_buffer
      - .offset:         24
        .size:           8
        .value_kind:     by_value
      - .offset:         32
        .size:           8
        .value_kind:     by_value
      - .offset:         40
        .size:           8
        .value_kind:     by_value
      - .address_space:  global
        .offset:         48
        .size:           8
        .value_kind:     global_buffer
      - .offset:         56
        .size:           8
        .value_kind:     by_value
      - .offset:         64
        .size:           8
        .value_kind:     by_value
      - .offset:         72
        .size:           8
        .value_kind:     by_value
    .group_segment_fixed_size: 16384
    .kernarg_segment_align: 8
    .kernarg_segment_size: 80
    .language:       OpenCL C
    .language_version:
      - 2
      - 0
    .max_flat_workgroup_size: 512
    .name:           _ZL19rocblas_tbsv_kernelILb0ELi512EPKdPdEv18rocblas_operation_bbiiT1_lllT2_lll
    .private_segment_fixed_size: 0
    .sgpr_count:     74
    .sgpr_spill_count: 0
    .symbol:         _ZL19rocblas_tbsv_kernelILb0ELi512EPKdPdEv18rocblas_operation_bbiiT1_lllT2_lll.kd
    .uniform_work_group_size: 1
    .uses_dynamic_stack: false
    .vgpr_count:     26
    .vgpr_spill_count: 0
    .wavefront_size: 64
  - .agpr_count:     0
    .args:
      - .offset:         0
        .size:           4
        .value_kind:     by_value
      - .offset:         4
        .size:           1
        .value_kind:     by_value
      - .offset:         5
        .size:           1
        .value_kind:     by_value
      - .offset:         8
        .size:           4
        .value_kind:     by_value
      - .offset:         12
        .size:           4
        .value_kind:     by_value
      - .address_space:  global
        .offset:         16
        .size:           8
        .value_kind:     global_buffer
      - .offset:         24
        .size:           8
        .value_kind:     by_value
      - .offset:         32
        .size:           8
        .value_kind:     by_value
      - .offset:         40
        .size:           8
        .value_kind:     by_value
      - .address_space:  global
        .offset:         48
        .size:           8
        .value_kind:     global_buffer
      - .offset:         56
        .size:           8
        .value_kind:     by_value
      - .offset:         64
        .size:           8
        .value_kind:     by_value
      - .offset:         72
        .size:           8
        .value_kind:     by_value
    .group_segment_fixed_size: 16384
    .kernarg_segment_align: 8
    .kernarg_segment_size: 80
    .language:       OpenCL C
    .language_version:
      - 2
      - 0
    .max_flat_workgroup_size: 512
    .name:           _ZL19rocblas_tbsv_kernelILb1ELi512EPK19rocblas_complex_numIfEPS1_Ev18rocblas_operation_bbiiT1_lllT2_lll
    .private_segment_fixed_size: 0
    .sgpr_count:     74
    .sgpr_spill_count: 0
    .symbol:         _ZL19rocblas_tbsv_kernelILb1ELi512EPK19rocblas_complex_numIfEPS1_Ev18rocblas_operation_bbiiT1_lllT2_lll.kd
    .uniform_work_group_size: 1
    .uses_dynamic_stack: false
    .vgpr_count:     30
    .vgpr_spill_count: 0
    .wavefront_size: 64
  - .agpr_count:     0
    .args:
      - .offset:         0
        .size:           4
        .value_kind:     by_value
      - .offset:         4
        .size:           1
        .value_kind:     by_value
      - .offset:         5
        .size:           1
        .value_kind:     by_value
      - .offset:         8
        .size:           4
        .value_kind:     by_value
      - .offset:         12
        .size:           4
        .value_kind:     by_value
      - .address_space:  global
        .offset:         16
        .size:           8
        .value_kind:     global_buffer
      - .offset:         24
        .size:           8
        .value_kind:     by_value
      - .offset:         32
        .size:           8
        .value_kind:     by_value
      - .offset:         40
        .size:           8
        .value_kind:     by_value
      - .address_space:  global
        .offset:         48
        .size:           8
        .value_kind:     global_buffer
      - .offset:         56
        .size:           8
        .value_kind:     by_value
      - .offset:         64
        .size:           8
        .value_kind:     by_value
      - .offset:         72
        .size:           8
        .value_kind:     by_value
    .group_segment_fixed_size: 16384
    .kernarg_segment_align: 8
    .kernarg_segment_size: 80
    .language:       OpenCL C
    .language_version:
      - 2
      - 0
    .max_flat_workgroup_size: 512
    .name:           _ZL19rocblas_tbsv_kernelILb0ELi512EPK19rocblas_complex_numIfEPS1_Ev18rocblas_operation_bbiiT1_lllT2_lll
    .private_segment_fixed_size: 0
    .sgpr_count:     74
    .sgpr_spill_count: 0
    .symbol:         _ZL19rocblas_tbsv_kernelILb0ELi512EPK19rocblas_complex_numIfEPS1_Ev18rocblas_operation_bbiiT1_lllT2_lll.kd
    .uniform_work_group_size: 1
    .uses_dynamic_stack: false
    .vgpr_count:     30
    .vgpr_spill_count: 0
    .wavefront_size: 64
  - .agpr_count:     0
    .args:
      - .offset:         0
        .size:           4
        .value_kind:     by_value
      - .offset:         4
        .size:           1
        .value_kind:     by_value
      - .offset:         5
        .size:           1
        .value_kind:     by_value
      - .offset:         8
        .size:           4
        .value_kind:     by_value
      - .offset:         12
        .size:           4
        .value_kind:     by_value
      - .address_space:  global
        .offset:         16
        .size:           8
        .value_kind:     global_buffer
      - .offset:         24
        .size:           8
        .value_kind:     by_value
      - .offset:         32
        .size:           8
        .value_kind:     by_value
      - .offset:         40
        .size:           8
        .value_kind:     by_value
      - .address_space:  global
        .offset:         48
        .size:           8
        .value_kind:     global_buffer
      - .offset:         56
        .size:           8
        .value_kind:     by_value
      - .offset:         64
        .size:           8
        .value_kind:     by_value
      - .offset:         72
        .size:           8
        .value_kind:     by_value
    .group_segment_fixed_size: 32768
    .kernarg_segment_align: 8
    .kernarg_segment_size: 80
    .language:       OpenCL C
    .language_version:
      - 2
      - 0
    .max_flat_workgroup_size: 512
    .name:           _ZL19rocblas_tbsv_kernelILb1ELi512EPK19rocblas_complex_numIdEPS1_Ev18rocblas_operation_bbiiT1_lllT2_lll
    .private_segment_fixed_size: 0
    .sgpr_count:     76
    .sgpr_spill_count: 0
    .symbol:         _ZL19rocblas_tbsv_kernelILb1ELi512EPK19rocblas_complex_numIdEPS1_Ev18rocblas_operation_bbiiT1_lllT2_lll.kd
    .uniform_work_group_size: 1
    .uses_dynamic_stack: false
    .vgpr_count:     34
    .vgpr_spill_count: 0
    .wavefront_size: 64
  - .agpr_count:     0
    .args:
      - .offset:         0
        .size:           4
        .value_kind:     by_value
      - .offset:         4
        .size:           1
        .value_kind:     by_value
      - .offset:         5
        .size:           1
        .value_kind:     by_value
      - .offset:         8
        .size:           4
        .value_kind:     by_value
      - .offset:         12
        .size:           4
        .value_kind:     by_value
      - .address_space:  global
        .offset:         16
        .size:           8
        .value_kind:     global_buffer
      - .offset:         24
        .size:           8
        .value_kind:     by_value
      - .offset:         32
        .size:           8
        .value_kind:     by_value
      - .offset:         40
        .size:           8
        .value_kind:     by_value
      - .address_space:  global
        .offset:         48
        .size:           8
        .value_kind:     global_buffer
      - .offset:         56
        .size:           8
        .value_kind:     by_value
      - .offset:         64
        .size:           8
        .value_kind:     by_value
      - .offset:         72
        .size:           8
        .value_kind:     by_value
    .group_segment_fixed_size: 32768
    .kernarg_segment_align: 8
    .kernarg_segment_size: 80
    .language:       OpenCL C
    .language_version:
      - 2
      - 0
    .max_flat_workgroup_size: 512
    .name:           _ZL19rocblas_tbsv_kernelILb0ELi512EPK19rocblas_complex_numIdEPS1_Ev18rocblas_operation_bbiiT1_lllT2_lll
    .private_segment_fixed_size: 0
    .sgpr_count:     76
    .sgpr_spill_count: 0
    .symbol:         _ZL19rocblas_tbsv_kernelILb0ELi512EPK19rocblas_complex_numIdEPS1_Ev18rocblas_operation_bbiiT1_lllT2_lll.kd
    .uniform_work_group_size: 1
    .uses_dynamic_stack: false
    .vgpr_count:     34
    .vgpr_spill_count: 0
    .wavefront_size: 64
  - .agpr_count:     0
    .args:
      - .offset:         0
        .size:           4
        .value_kind:     by_value
      - .offset:         4
        .size:           1
        .value_kind:     by_value
      - .offset:         5
        .size:           1
        .value_kind:     by_value
      - .offset:         8
        .size:           4
        .value_kind:     by_value
      - .offset:         12
        .size:           4
        .value_kind:     by_value
      - .address_space:  global
        .offset:         16
        .size:           8
        .value_kind:     global_buffer
      - .offset:         24
        .size:           8
        .value_kind:     by_value
      - .offset:         32
        .size:           8
        .value_kind:     by_value
      - .offset:         40
        .size:           8
        .value_kind:     by_value
      - .address_space:  global
        .offset:         48
        .size:           8
        .value_kind:     global_buffer
      - .offset:         56
        .size:           8
        .value_kind:     by_value
      - .offset:         64
        .size:           8
        .value_kind:     by_value
      - .offset:         72
        .size:           8
        .value_kind:     by_value
    .group_segment_fixed_size: 8192
    .kernarg_segment_align: 8
    .kernarg_segment_size: 80
    .language:       OpenCL C
    .language_version:
      - 2
      - 0
    .max_flat_workgroup_size: 512
    .name:           _ZL19rocblas_tbsv_kernelILb1ELi512EPKPKfPKPfEv18rocblas_operation_bbiiT1_lllT2_lll
    .private_segment_fixed_size: 0
    .sgpr_count:     74
    .sgpr_spill_count: 0
    .symbol:         _ZL19rocblas_tbsv_kernelILb1ELi512EPKPKfPKPfEv18rocblas_operation_bbiiT1_lllT2_lll.kd
    .uniform_work_group_size: 1
    .uses_dynamic_stack: false
    .vgpr_count:     21
    .vgpr_spill_count: 0
    .wavefront_size: 64
  - .agpr_count:     0
    .args:
      - .offset:         0
        .size:           4
        .value_kind:     by_value
      - .offset:         4
        .size:           1
        .value_kind:     by_value
      - .offset:         5
        .size:           1
        .value_kind:     by_value
      - .offset:         8
        .size:           4
        .value_kind:     by_value
      - .offset:         12
        .size:           4
        .value_kind:     by_value
      - .address_space:  global
        .offset:         16
        .size:           8
        .value_kind:     global_buffer
      - .offset:         24
        .size:           8
        .value_kind:     by_value
      - .offset:         32
        .size:           8
        .value_kind:     by_value
      - .offset:         40
        .size:           8
        .value_kind:     by_value
      - .address_space:  global
        .offset:         48
        .size:           8
        .value_kind:     global_buffer
      - .offset:         56
        .size:           8
        .value_kind:     by_value
      - .offset:         64
        .size:           8
        .value_kind:     by_value
      - .offset:         72
        .size:           8
        .value_kind:     by_value
    .group_segment_fixed_size: 8192
    .kernarg_segment_align: 8
    .kernarg_segment_size: 80
    .language:       OpenCL C
    .language_version:
      - 2
      - 0
    .max_flat_workgroup_size: 512
    .name:           _ZL19rocblas_tbsv_kernelILb0ELi512EPKPKfPKPfEv18rocblas_operation_bbiiT1_lllT2_lll
    .private_segment_fixed_size: 0
    .sgpr_count:     74
    .sgpr_spill_count: 0
    .symbol:         _ZL19rocblas_tbsv_kernelILb0ELi512EPKPKfPKPfEv18rocblas_operation_bbiiT1_lllT2_lll.kd
    .uniform_work_group_size: 1
    .uses_dynamic_stack: false
    .vgpr_count:     21
    .vgpr_spill_count: 0
    .wavefront_size: 64
  - .agpr_count:     0
    .args:
      - .offset:         0
        .size:           4
        .value_kind:     by_value
      - .offset:         4
        .size:           1
        .value_kind:     by_value
      - .offset:         5
        .size:           1
        .value_kind:     by_value
      - .offset:         8
        .size:           4
        .value_kind:     by_value
      - .offset:         12
        .size:           4
        .value_kind:     by_value
      - .address_space:  global
        .offset:         16
        .size:           8
        .value_kind:     global_buffer
      - .offset:         24
        .size:           8
        .value_kind:     by_value
      - .offset:         32
        .size:           8
        .value_kind:     by_value
      - .offset:         40
        .size:           8
        .value_kind:     by_value
      - .address_space:  global
        .offset:         48
        .size:           8
        .value_kind:     global_buffer
      - .offset:         56
        .size:           8
        .value_kind:     by_value
      - .offset:         64
        .size:           8
        .value_kind:     by_value
      - .offset:         72
        .size:           8
        .value_kind:     by_value
    .group_segment_fixed_size: 16384
    .kernarg_segment_align: 8
    .kernarg_segment_size: 80
    .language:       OpenCL C
    .language_version:
      - 2
      - 0
    .max_flat_workgroup_size: 512
    .name:           _ZL19rocblas_tbsv_kernelILb1ELi512EPKPKdPKPdEv18rocblas_operation_bbiiT1_lllT2_lll
    .private_segment_fixed_size: 0
    .sgpr_count:     74
    .sgpr_spill_count: 0
    .symbol:         _ZL19rocblas_tbsv_kernelILb1ELi512EPKPKdPKPdEv18rocblas_operation_bbiiT1_lllT2_lll.kd
    .uniform_work_group_size: 1
    .uses_dynamic_stack: false
    .vgpr_count:     24
    .vgpr_spill_count: 0
    .wavefront_size: 64
  - .agpr_count:     0
    .args:
      - .offset:         0
        .size:           4
        .value_kind:     by_value
      - .offset:         4
        .size:           1
        .value_kind:     by_value
      - .offset:         5
        .size:           1
        .value_kind:     by_value
      - .offset:         8
        .size:           4
        .value_kind:     by_value
      - .offset:         12
        .size:           4
        .value_kind:     by_value
      - .address_space:  global
        .offset:         16
        .size:           8
        .value_kind:     global_buffer
      - .offset:         24
        .size:           8
        .value_kind:     by_value
      - .offset:         32
        .size:           8
        .value_kind:     by_value
      - .offset:         40
        .size:           8
        .value_kind:     by_value
      - .address_space:  global
        .offset:         48
        .size:           8
        .value_kind:     global_buffer
      - .offset:         56
        .size:           8
        .value_kind:     by_value
      - .offset:         64
        .size:           8
        .value_kind:     by_value
      - .offset:         72
        .size:           8
        .value_kind:     by_value
    .group_segment_fixed_size: 16384
    .kernarg_segment_align: 8
    .kernarg_segment_size: 80
    .language:       OpenCL C
    .language_version:
      - 2
      - 0
    .max_flat_workgroup_size: 512
    .name:           _ZL19rocblas_tbsv_kernelILb0ELi512EPKPKdPKPdEv18rocblas_operation_bbiiT1_lllT2_lll
    .private_segment_fixed_size: 0
    .sgpr_count:     74
    .sgpr_spill_count: 0
    .symbol:         _ZL19rocblas_tbsv_kernelILb0ELi512EPKPKdPKPdEv18rocblas_operation_bbiiT1_lllT2_lll.kd
    .uniform_work_group_size: 1
    .uses_dynamic_stack: false
    .vgpr_count:     24
    .vgpr_spill_count: 0
    .wavefront_size: 64
  - .agpr_count:     0
    .args:
      - .offset:         0
        .size:           4
        .value_kind:     by_value
      - .offset:         4
        .size:           1
        .value_kind:     by_value
      - .offset:         5
        .size:           1
        .value_kind:     by_value
      - .offset:         8
        .size:           4
        .value_kind:     by_value
      - .offset:         12
        .size:           4
        .value_kind:     by_value
      - .address_space:  global
        .offset:         16
        .size:           8
        .value_kind:     global_buffer
      - .offset:         24
        .size:           8
        .value_kind:     by_value
      - .offset:         32
        .size:           8
        .value_kind:     by_value
      - .offset:         40
        .size:           8
        .value_kind:     by_value
      - .address_space:  global
        .offset:         48
        .size:           8
        .value_kind:     global_buffer
      - .offset:         56
        .size:           8
        .value_kind:     by_value
      - .offset:         64
        .size:           8
        .value_kind:     by_value
      - .offset:         72
        .size:           8
        .value_kind:     by_value
    .group_segment_fixed_size: 16384
    .kernarg_segment_align: 8
    .kernarg_segment_size: 80
    .language:       OpenCL C
    .language_version:
      - 2
      - 0
    .max_flat_workgroup_size: 512
    .name:           _ZL19rocblas_tbsv_kernelILb1ELi512EPKPK19rocblas_complex_numIfEPKPS1_Ev18rocblas_operation_bbiiT1_lllT2_lll
    .private_segment_fixed_size: 0
    .sgpr_count:     74
    .sgpr_spill_count: 0
    .symbol:         _ZL19rocblas_tbsv_kernelILb1ELi512EPKPK19rocblas_complex_numIfEPKPS1_Ev18rocblas_operation_bbiiT1_lllT2_lll.kd
    .uniform_work_group_size: 1
    .uses_dynamic_stack: false
    .vgpr_count:     30
    .vgpr_spill_count: 0
    .wavefront_size: 64
  - .agpr_count:     0
    .args:
      - .offset:         0
        .size:           4
        .value_kind:     by_value
      - .offset:         4
        .size:           1
        .value_kind:     by_value
      - .offset:         5
        .size:           1
        .value_kind:     by_value
      - .offset:         8
        .size:           4
        .value_kind:     by_value
      - .offset:         12
        .size:           4
        .value_kind:     by_value
      - .address_space:  global
        .offset:         16
        .size:           8
        .value_kind:     global_buffer
      - .offset:         24
        .size:           8
        .value_kind:     by_value
      - .offset:         32
        .size:           8
        .value_kind:     by_value
      - .offset:         40
        .size:           8
        .value_kind:     by_value
      - .address_space:  global
        .offset:         48
        .size:           8
        .value_kind:     global_buffer
      - .offset:         56
        .size:           8
        .value_kind:     by_value
      - .offset:         64
        .size:           8
        .value_kind:     by_value
      - .offset:         72
        .size:           8
        .value_kind:     by_value
    .group_segment_fixed_size: 16384
    .kernarg_segment_align: 8
    .kernarg_segment_size: 80
    .language:       OpenCL C
    .language_version:
      - 2
      - 0
    .max_flat_workgroup_size: 512
    .name:           _ZL19rocblas_tbsv_kernelILb0ELi512EPKPK19rocblas_complex_numIfEPKPS1_Ev18rocblas_operation_bbiiT1_lllT2_lll
    .private_segment_fixed_size: 0
    .sgpr_count:     74
    .sgpr_spill_count: 0
    .symbol:         _ZL19rocblas_tbsv_kernelILb0ELi512EPKPK19rocblas_complex_numIfEPKPS1_Ev18rocblas_operation_bbiiT1_lllT2_lll.kd
    .uniform_work_group_size: 1
    .uses_dynamic_stack: false
    .vgpr_count:     30
    .vgpr_spill_count: 0
    .wavefront_size: 64
  - .agpr_count:     0
    .args:
      - .offset:         0
        .size:           4
        .value_kind:     by_value
      - .offset:         4
        .size:           1
        .value_kind:     by_value
      - .offset:         5
        .size:           1
        .value_kind:     by_value
      - .offset:         8
        .size:           4
        .value_kind:     by_value
      - .offset:         12
        .size:           4
        .value_kind:     by_value
      - .address_space:  global
        .offset:         16
        .size:           8
        .value_kind:     global_buffer
      - .offset:         24
        .size:           8
        .value_kind:     by_value
      - .offset:         32
        .size:           8
        .value_kind:     by_value
      - .offset:         40
        .size:           8
        .value_kind:     by_value
      - .address_space:  global
        .offset:         48
        .size:           8
        .value_kind:     global_buffer
      - .offset:         56
        .size:           8
        .value_kind:     by_value
      - .offset:         64
        .size:           8
        .value_kind:     by_value
      - .offset:         72
        .size:           8
        .value_kind:     by_value
    .group_segment_fixed_size: 32768
    .kernarg_segment_align: 8
    .kernarg_segment_size: 80
    .language:       OpenCL C
    .language_version:
      - 2
      - 0
    .max_flat_workgroup_size: 512
    .name:           _ZL19rocblas_tbsv_kernelILb1ELi512EPKPK19rocblas_complex_numIdEPKPS1_Ev18rocblas_operation_bbiiT1_lllT2_lll
    .private_segment_fixed_size: 0
    .sgpr_count:     76
    .sgpr_spill_count: 0
    .symbol:         _ZL19rocblas_tbsv_kernelILb1ELi512EPKPK19rocblas_complex_numIdEPKPS1_Ev18rocblas_operation_bbiiT1_lllT2_lll.kd
    .uniform_work_group_size: 1
    .uses_dynamic_stack: false
    .vgpr_count:     32
    .vgpr_spill_count: 0
    .wavefront_size: 64
  - .agpr_count:     0
    .args:
      - .offset:         0
        .size:           4
        .value_kind:     by_value
      - .offset:         4
        .size:           1
        .value_kind:     by_value
      - .offset:         5
        .size:           1
        .value_kind:     by_value
      - .offset:         8
        .size:           4
        .value_kind:     by_value
      - .offset:         12
        .size:           4
        .value_kind:     by_value
      - .address_space:  global
        .offset:         16
        .size:           8
        .value_kind:     global_buffer
      - .offset:         24
        .size:           8
        .value_kind:     by_value
      - .offset:         32
        .size:           8
        .value_kind:     by_value
      - .offset:         40
        .size:           8
        .value_kind:     by_value
      - .address_space:  global
        .offset:         48
        .size:           8
        .value_kind:     global_buffer
      - .offset:         56
        .size:           8
        .value_kind:     by_value
      - .offset:         64
        .size:           8
        .value_kind:     by_value
      - .offset:         72
        .size:           8
        .value_kind:     by_value
    .group_segment_fixed_size: 32768
    .kernarg_segment_align: 8
    .kernarg_segment_size: 80
    .language:       OpenCL C
    .language_version:
      - 2
      - 0
    .max_flat_workgroup_size: 512
    .name:           _ZL19rocblas_tbsv_kernelILb0ELi512EPKPK19rocblas_complex_numIdEPKPS1_Ev18rocblas_operation_bbiiT1_lllT2_lll
    .private_segment_fixed_size: 0
    .sgpr_count:     76
    .sgpr_spill_count: 0
    .symbol:         _ZL19rocblas_tbsv_kernelILb0ELi512EPKPK19rocblas_complex_numIdEPKPS1_Ev18rocblas_operation_bbiiT1_lllT2_lll.kd
    .uniform_work_group_size: 1
    .uses_dynamic_stack: false
    .vgpr_count:     32
    .vgpr_spill_count: 0
    .wavefront_size: 64
amdhsa.target:   amdgcn-amd-amdhsa--gfx950
amdhsa.version:
  - 1
  - 2
...

	.end_amdgpu_metadata
